;; amdgpu-corpus repo=ROCm/rocFFT kind=compiled arch=gfx906 opt=O3
	.text
	.amdgcn_target "amdgcn-amd-amdhsa--gfx906"
	.amdhsa_code_object_version 6
	.protected	bluestein_single_fwd_len945_dim1_sp_op_CI_CI ; -- Begin function bluestein_single_fwd_len945_dim1_sp_op_CI_CI
	.globl	bluestein_single_fwd_len945_dim1_sp_op_CI_CI
	.p2align	8
	.type	bluestein_single_fwd_len945_dim1_sp_op_CI_CI,@function
bluestein_single_fwd_len945_dim1_sp_op_CI_CI: ; @bluestein_single_fwd_len945_dim1_sp_op_CI_CI
; %bb.0:
	s_load_dwordx4 s[16:19], s[4:5], 0x28
	v_mul_u32_u24_e32 v1, 0x411, v0
	v_add_u32_sdwa v158, s6, v1 dst_sel:DWORD dst_unused:UNUSED_PAD src0_sel:DWORD src1_sel:WORD_1
	v_mov_b32_e32 v159, 0
	s_waitcnt lgkmcnt(0)
	v_cmp_gt_u64_e32 vcc, s[16:17], v[158:159]
	s_and_saveexec_b64 s[0:1], vcc
	s_cbranch_execz .LBB0_10
; %bb.1:
	s_load_dwordx4 s[0:3], s[4:5], 0x18
	s_load_dwordx4 s[12:15], s[4:5], 0x0
	v_mov_b32_e32 v2, 63
	v_mul_lo_u16_sdwa v1, v1, v2 dst_sel:DWORD dst_unused:UNUSED_PAD src0_sel:WORD_1 src1_sel:DWORD
	v_sub_u16_e32 v174, v0, v1
	s_waitcnt lgkmcnt(0)
	s_load_dwordx4 s[8:11], s[0:1], 0x0
	v_lshlrev_b32_e32 v173, 3, v174
	s_movk_i32 s6, 0x1000
	global_load_dwordx2 v[167:168], v173, s[12:13] offset:2520
	v_add_u32_e32 v62, 0x800, v173
	s_waitcnt lgkmcnt(0)
	v_mad_u64_u32 v[0:1], s[0:1], s10, v158, 0
	v_mad_u64_u32 v[2:3], s[0:1], s8, v174, 0
	s_mul_hi_u32 s7, s8, 0xffffee48
	s_sub_i32 s7, s7, s8
	v_mad_u64_u32 v[4:5], s[0:1], s11, v158, v[1:2]
	v_add_u32_e32 v63, 0x1000, v173
	v_add_u32_e32 v61, 0xc00, v173
	v_mad_u64_u32 v[5:6], s[0:1], s9, v174, v[3:4]
	v_mov_b32_e32 v1, v4
	v_lshlrev_b64 v[0:1], 3, v[0:1]
	v_mov_b32_e32 v6, s19
	v_mov_b32_e32 v3, v5
	v_add_co_u32_e32 v4, vcc, s18, v0
	v_addc_co_u32_e32 v5, vcc, v6, v1, vcc
	v_lshlrev_b64 v[0:1], 3, v[2:3]
	v_mov_b32_e32 v2, s13
	v_add_co_u32_e32 v0, vcc, v4, v0
	v_addc_co_u32_e32 v1, vcc, v5, v1, vcc
	v_add_co_u32_e32 v12, vcc, s12, v173
	s_mul_i32 s0, s9, 0x9d8
	s_mul_hi_u32 s1, s8, 0x9d8
	v_addc_co_u32_e32 v13, vcc, 0, v2, vcc
	s_add_i32 s0, s1, s0
	s_mul_i32 s1, s8, 0x9d8
	v_mov_b32_e32 v3, s0
	v_add_co_u32_e32 v2, vcc, s1, v0
	v_addc_co_u32_e32 v3, vcc, v1, v3, vcc
	v_mov_b32_e32 v5, s0
	v_add_co_u32_e32 v4, vcc, s1, v2
	v_addc_co_u32_e32 v5, vcc, v3, v5, vcc
	global_load_dwordx2 v[6:7], v[0:1], off
	global_load_dwordx2 v[8:9], v[2:3], off
	;; [unrolled: 1-line block ×3, first 2 shown]
	v_add_co_u32_e32 v0, vcc, s6, v12
	s_mul_i32 s6, s9, 0xffffee48
	v_addc_co_u32_e32 v1, vcc, 0, v13, vcc
	s_add_i32 s6, s7, s6
	s_mul_i32 s7, s8, 0xffffee48
	v_mov_b32_e32 v3, s6
	v_add_co_u32_e32 v2, vcc, s7, v4
	v_addc_co_u32_e32 v3, vcc, v5, v3, vcc
	v_mov_b32_e32 v5, s0
	v_add_co_u32_e32 v4, vcc, s1, v2
	v_addc_co_u32_e32 v5, vcc, v3, v5, vcc
	global_load_dwordx2 v[163:164], v[0:1], off offset:944
	global_load_dwordx2 v[169:170], v173, s[12:13]
	global_load_dwordx2 v[165:166], v173, s[12:13] offset:504
	global_load_dwordx2 v[12:13], v[2:3], off
	global_load_dwordx2 v[14:15], v[4:5], off
	global_load_dwordx2 v[161:162], v173, s[12:13] offset:3024
	v_mov_b32_e32 v3, s0
	v_add_co_u32_e32 v2, vcc, s1, v4
	v_addc_co_u32_e32 v3, vcc, v5, v3, vcc
	global_load_dwordx2 v[4:5], v[2:3], off
	global_load_dwordx2 v[159:160], v[0:1], off offset:1448
	v_mov_b32_e32 v16, s6
	v_add_co_u32_e32 v2, vcc, s7, v2
	v_addc_co_u32_e32 v3, vcc, v3, v16, vcc
	global_load_dwordx2 v[16:17], v[2:3], off
	global_load_dwordx2 v[156:157], v173, s[12:13] offset:1008
	v_mov_b32_e32 v18, s0
	v_add_co_u32_e32 v2, vcc, s1, v2
	v_addc_co_u32_e32 v3, vcc, v3, v18, vcc
	global_load_dwordx2 v[18:19], v[2:3], off
	global_load_dwordx2 v[154:155], v173, s[12:13] offset:3528
	v_mov_b32_e32 v20, s0
	v_add_co_u32_e32 v2, vcc, s1, v2
	v_addc_co_u32_e32 v3, vcc, v3, v20, vcc
	global_load_dwordx2 v[20:21], v[2:3], off
	global_load_dwordx2 v[152:153], v[0:1], off offset:1952
	v_mov_b32_e32 v22, s6
	v_add_co_u32_e32 v2, vcc, s7, v2
	v_addc_co_u32_e32 v3, vcc, v3, v22, vcc
	global_load_dwordx2 v[22:23], v[2:3], off
	global_load_dwordx2 v[150:151], v173, s[12:13] offset:1512
	v_mov_b32_e32 v24, s0
	v_add_co_u32_e32 v2, vcc, s1, v2
	v_addc_co_u32_e32 v3, vcc, v3, v24, vcc
	;; [unrolled: 15-line block ×3, first 2 shown]
	global_load_dwordx2 v[31:32], v[2:3], off
	global_load_dwordx2 v[142:143], v[0:1], off offset:440
	v_add_co_u32_e32 v2, vcc, s1, v2
	v_addc_co_u32_e32 v3, vcc, v3, v28, vcc
	global_load_dwordx2 v[33:34], v[2:3], off
	global_load_dwordx2 v[140:141], v[0:1], off offset:2960
	s_waitcnt vmcnt(27)
	v_mul_f32_e32 v2, v9, v168
	v_mul_f32_e32 v3, v8, v168
	v_fmac_f32_e32 v2, v8, v167
	v_fma_f32 v3, v9, v167, -v3
	ds_write_b64 v173, v[2:3] offset:2520
	v_add_u32_e32 v65, 0x1800, v173
	s_load_dwordx4 s[8:11], s[2:3], 0x0
	v_add_u32_e32 v66, 0x400, v173
	v_add_u32_e32 v64, 0x1400, v173
	v_add_co_u32_e32 v40, vcc, 63, v174
	s_movk_i32 s0, 0x7e
	v_add_co_u32_e32 v60, vcc, s0, v174
	s_movk_i32 s0, 0xbd
	;; [unrolled: 2-line block ×3, first 2 shown]
	s_waitcnt vmcnt(25)
	v_mul_f32_e32 v2, v11, v164
	v_mul_f32_e32 v3, v10, v164
	v_fmac_f32_e32 v2, v10, v163
	v_fma_f32 v3, v11, v163, -v3
	s_waitcnt vmcnt(24)
	v_mul_f32_e32 v0, v7, v170
	v_mul_f32_e32 v1, v6, v170
	ds_write_b64 v173, v[2:3] offset:5040
	s_waitcnt vmcnt(22)
	v_mul_f32_e32 v2, v13, v166
	v_mul_f32_e32 v3, v12, v166
	v_fmac_f32_e32 v0, v6, v169
	v_fma_f32 v1, v7, v169, -v1
	v_fmac_f32_e32 v2, v12, v165
	v_fma_f32 v3, v13, v165, -v3
	ds_write2_b64 v173, v[0:1], v[2:3] offset1:63
	s_waitcnt vmcnt(20)
	v_mul_f32_e32 v0, v15, v162
	v_mul_f32_e32 v1, v14, v162
	v_fmac_f32_e32 v0, v14, v161
	v_fma_f32 v1, v15, v161, -v1
	s_waitcnt vmcnt(18)
	v_mul_f32_e32 v2, v5, v160
	v_mul_f32_e32 v3, v4, v160
	s_waitcnt vmcnt(14)
	v_mul_f32_e32 v6, v19, v155
	v_mul_f32_e32 v7, v18, v155
	v_fmac_f32_e32 v6, v18, v154
	v_fma_f32 v7, v19, v154, -v7
	ds_write2_b64 v62, v[0:1], v[6:7] offset0:122 offset1:185
	v_fmac_f32_e32 v2, v4, v159
	s_waitcnt vmcnt(12)
	v_mul_f32_e32 v0, v21, v153
	v_mul_f32_e32 v1, v20, v153
	v_fma_f32 v3, v5, v159, -v3
	v_fmac_f32_e32 v0, v20, v152
	v_fma_f32 v1, v21, v152, -v1
	v_mul_f32_e32 v4, v17, v157
	v_mul_f32_e32 v5, v16, v157
	ds_write2_b64 v63, v[2:3], v[0:1] offset0:181 offset1:244
	s_waitcnt vmcnt(10)
	v_mul_f32_e32 v0, v23, v151
	v_mul_f32_e32 v1, v22, v151
	v_fmac_f32_e32 v4, v16, v156
	v_fma_f32 v5, v17, v156, -v5
	v_fmac_f32_e32 v0, v22, v150
	v_fma_f32 v1, v23, v150, -v1
	ds_write2_b64 v173, v[4:5], v[0:1] offset0:126 offset1:189
	s_waitcnt vmcnt(8)
	v_mul_f32_e32 v0, v25, v149
	v_mul_f32_e32 v1, v24, v149
	v_fmac_f32_e32 v0, v24, v148
	v_fma_f32 v1, v25, v148, -v1
	s_waitcnt vmcnt(6)
	v_mul_f32_e32 v2, v27, v147
	v_mul_f32_e32 v3, v26, v147
	v_fmac_f32_e32 v2, v26, v146
	v_fma_f32 v3, v27, v146, -v3
	v_add_co_u32_e32 v36, vcc, s0, v174
	s_waitcnt vmcnt(4)
	v_mul_f32_e32 v4, v30, v145
	v_mul_f32_e32 v5, v29, v145
	v_fmac_f32_e32 v4, v29, v144
	v_fma_f32 v5, v30, v144, -v5
	ds_write_b64 v173, v[4:5] offset:2016
	s_waitcnt vmcnt(2)
	v_mul_f32_e32 v4, v32, v143
	v_mul_f32_e32 v5, v31, v143
	v_fmac_f32_e32 v4, v31, v142
	v_fma_f32 v5, v32, v142, -v5
	ds_write2_b64 v61, v[0:1], v[4:5] offset0:120 offset1:183
	s_waitcnt vmcnt(0)
	v_mul_f32_e32 v0, v34, v141
	v_mul_f32_e32 v1, v33, v141
	v_fmac_f32_e32 v0, v33, v140
	v_fma_f32 v1, v34, v140, -v1
	ds_write2_b64 v65, v[2:3], v[0:1] offset0:51 offset1:114
	s_waitcnt lgkmcnt(0)
	; wave barrier
	s_waitcnt lgkmcnt(0)
	ds_read2_b64 v[0:3], v173 offset1:63
	ds_read2_b64 v[4:7], v66 offset0:124 offset1:187
	ds_read2_b64 v[8:11], v63 offset0:118 offset1:181
	;; [unrolled: 1-line block ×6, first 2 shown]
	ds_read_b64 v[29:30], v173 offset:7056
	s_waitcnt lgkmcnt(0)
	v_add_f32_e32 v32, v6, v8
	v_add_f32_e32 v31, v0, v6
	v_fma_f32 v0, -0.5, v32, v0
	v_sub_f32_e32 v32, v7, v9
	v_mov_b32_e32 v33, v0
	v_fmac_f32_e32 v33, 0x3f5db3d7, v32
	v_fmac_f32_e32 v0, 0xbf5db3d7, v32
	v_add_f32_e32 v32, v1, v7
	v_add_f32_e32 v7, v7, v9
	v_fma_f32 v1, -0.5, v7, v1
	v_sub_f32_e32 v6, v6, v8
	v_mov_b32_e32 v34, v1
	v_add_f32_e32 v7, v12, v10
	v_fmac_f32_e32 v34, 0xbf5db3d7, v6
	v_fmac_f32_e32 v1, 0x3f5db3d7, v6
	v_add_f32_e32 v6, v2, v12
	v_fma_f32 v2, -0.5, v7, v2
	v_add_f32_e32 v31, v31, v8
	v_sub_f32_e32 v7, v13, v11
	v_mov_b32_e32 v8, v2
	v_add_f32_e32 v32, v32, v9
	v_fmac_f32_e32 v8, 0x3f5db3d7, v7
	v_fmac_f32_e32 v2, 0xbf5db3d7, v7
	v_add_f32_e32 v7, v3, v13
	v_add_f32_e32 v9, v13, v11
	;; [unrolled: 1-line block ×3, first 2 shown]
	v_fmac_f32_e32 v3, -0.5, v9
	v_add_f32_e32 v11, v14, v20
	v_add_f32_e32 v6, v6, v10
	v_sub_f32_e32 v10, v12, v10
	v_mov_b32_e32 v9, v3
	v_fma_f32 v12, -0.5, v11, v16
	v_add_f32_e32 v13, v15, v21
	v_fmac_f32_e32 v9, 0xbf5db3d7, v10
	v_fmac_f32_e32 v3, 0x3f5db3d7, v10
	v_add_f32_e32 v10, v16, v14
	v_sub_f32_e32 v11, v15, v21
	v_mov_b32_e32 v16, v12
	v_fma_f32 v13, -0.5, v13, v17
	v_fmac_f32_e32 v16, 0x3f5db3d7, v11
	v_fmac_f32_e32 v12, 0xbf5db3d7, v11
	v_add_f32_e32 v11, v17, v15
	v_sub_f32_e32 v14, v14, v20
	v_mov_b32_e32 v17, v13
	v_add_f32_e32 v15, v24, v22
	v_fmac_f32_e32 v17, 0xbf5db3d7, v14
	v_fmac_f32_e32 v13, 0x3f5db3d7, v14
	v_add_f32_e32 v14, v18, v24
	v_fma_f32 v18, -0.5, v15, v18
	v_add_f32_e32 v10, v10, v20
	v_add_f32_e32 v11, v11, v21
	v_sub_f32_e32 v15, v25, v23
	v_mov_b32_e32 v20, v18
	v_add_f32_e32 v21, v25, v23
	v_fmac_f32_e32 v20, 0x3f5db3d7, v15
	v_fmac_f32_e32 v18, 0xbf5db3d7, v15
	v_add_f32_e32 v15, v19, v25
	v_fmac_f32_e32 v19, -0.5, v21
	v_add_f32_e32 v14, v14, v22
	v_add_f32_e32 v15, v15, v23
	v_sub_f32_e32 v22, v24, v22
	v_mov_b32_e32 v21, v19
	v_add_f32_e32 v23, v26, v29
	v_fmac_f32_e32 v21, 0xbf5db3d7, v22
	v_fmac_f32_e32 v19, 0x3f5db3d7, v22
	v_add_f32_e32 v22, v4, v26
	v_fma_f32 v4, -0.5, v23, v4
	v_sub_f32_e32 v23, v27, v30
	v_mov_b32_e32 v24, v4
	v_add_f32_e32 v25, v27, v30
	v_fmac_f32_e32 v24, 0x3f5db3d7, v23
	v_fmac_f32_e32 v4, 0xbf5db3d7, v23
	v_add_f32_e32 v23, v5, v27
	v_fmac_f32_e32 v5, -0.5, v25
	v_sub_f32_e32 v26, v26, v29
	v_mov_b32_e32 v25, v5
	v_fmac_f32_e32 v25, 0xbf5db3d7, v26
	v_fmac_f32_e32 v5, 0x3f5db3d7, v26
	v_mul_lo_u16_e32 v26, 3, v174
	v_lshlrev_b32_e32 v175, 3, v26
	; wave barrier
	ds_write2_b64 v175, v[31:32], v[33:34] offset1:1
	ds_write_b64 v175, v[0:1] offset:16
	v_mul_u32_u24_e32 v0, 3, v40
	v_lshlrev_b32_e32 v176, 3, v0
	v_mul_u32_u24_e32 v0, 3, v60
	v_lshlrev_b32_e32 v177, 3, v0
	;; [unrolled: 2-line block ×3, first 2 shown]
	v_mul_u32_u24_e32 v0, 3, v36
	s_movk_i32 s0, 0xab
	v_lshlrev_b32_e32 v179, 3, v0
	v_mul_lo_u16_sdwa v0, v174, s0 dst_sel:DWORD dst_unused:UNUSED_PAD src0_sel:BYTE_0 src1_sel:DWORD
	v_add_f32_e32 v22, v22, v29
	v_add_f32_e32 v23, v23, v30
	v_lshrrev_b16_e32 v35, 9, v0
	ds_write2_b64 v176, v[6:7], v[8:9] offset1:1
	ds_write_b64 v176, v[2:3] offset:16
	ds_write2_b64 v177, v[10:11], v[16:17] offset1:1
	ds_write_b64 v177, v[12:13] offset:16
	;; [unrolled: 2-line block ×4, first 2 shown]
	v_mul_lo_u16_e32 v0, 3, v35
	v_mul_lo_u16_sdwa v4, v40, s0 dst_sel:DWORD dst_unused:UNUSED_PAD src0_sel:BYTE_0 src1_sel:DWORD
	v_sub_u16_e32 v0, v174, v0
	v_lshrrev_b16_e32 v55, 9, v4
	v_and_b32_e32 v39, 0xff, v0
	v_mul_lo_u16_e32 v4, 3, v55
	v_mul_lo_u16_sdwa v8, v60, s0 dst_sel:DWORD dst_unused:UNUSED_PAD src0_sel:BYTE_0 src1_sel:DWORD
	v_lshlrev_b32_e32 v0, 4, v39
	v_sub_u16_e32 v4, v40, v4
	v_lshrrev_b16_e32 v57, 9, v8
	s_waitcnt lgkmcnt(0)
	; wave barrier
	s_waitcnt lgkmcnt(0)
	global_load_dwordx4 v[0:3], v0, s[14:15]
	v_and_b32_e32 v56, 0xff, v4
	v_mul_lo_u16_e32 v8, 3, v57
	v_mul_lo_u16_sdwa v12, v28, s0 dst_sel:DWORD dst_unused:UNUSED_PAD src0_sel:BYTE_0 src1_sel:DWORD
	v_lshlrev_b32_e32 v4, 4, v56
	global_load_dwordx4 v[4:7], v4, s[14:15]
	v_sub_u16_e32 v8, v60, v8
	v_lshrrev_b16_e32 v59, 9, v12
	s_mov_b32 s0, 0xaaab
	v_and_b32_e32 v58, 0xff, v8
	v_mul_lo_u16_e32 v12, 3, v59
	v_mul_u32_u24_sdwa v16, v36, s0 dst_sel:DWORD dst_unused:UNUSED_PAD src0_sel:WORD_0 src1_sel:DWORD
	v_lshlrev_b32_e32 v8, 4, v58
	v_sub_u16_e32 v12, v28, v12
	v_lshrrev_b32_e32 v68, 17, v16
	global_load_dwordx4 v[8:11], v8, s[14:15]
	v_and_b32_e32 v67, 0xff, v12
	v_mul_lo_u16_e32 v16, 3, v68
	v_lshlrev_b32_e32 v12, 4, v67
	global_load_dwordx4 v[12:15], v12, s[14:15]
	v_sub_u16_e32 v69, v36, v16
	v_lshlrev_b16_e32 v16, 1, v69
	v_lshlrev_b32_e32 v16, 3, v16
	global_load_dwordx4 v[16:19], v16, s[14:15]
	ds_read2_b64 v[20:23], v173 offset1:63
	ds_read2_b64 v[24:27], v66 offset0:124 offset1:187
	ds_read2_b64 v[29:32], v63 offset0:118 offset1:181
	;; [unrolled: 1-line block ×5, first 2 shown]
	ds_read_b64 v[33:34], v173 offset:7056
	v_mul_u32_u24_e32 v35, 9, v35
	v_add_lshl_u32 v180, v35, v39, 3
	s_mov_b32 s0, 0xe38f
	s_load_dwordx2 s[2:3], s[4:5], 0x38
                                        ; implicit-def: $vgpr171
                                        ; implicit-def: $vgpr134
                                        ; implicit-def: $vgpr126
	s_waitcnt vmcnt(4) lgkmcnt(0)
	v_mul_f32_e32 v37, v27, v1
	v_fma_f32 v37, v26, v0, -v37
	v_mul_f32_e32 v38, v26, v1
	v_mul_f32_e32 v26, v30, v3
	v_fma_f32 v53, v29, v2, -v26
	s_waitcnt vmcnt(3)
	v_mul_f32_e32 v26, v42, v5
	v_fma_f32 v54, v41, v4, -v26
	v_mul_f32_e32 v70, v41, v5
	v_mul_f32_e32 v26, v32, v7
	v_fmac_f32_e32 v70, v42, v4
	v_fma_f32 v42, v31, v6, -v26
	v_fmac_f32_e32 v38, v27, v0
	v_mul_f32_e32 v29, v29, v3
	v_add_f32_e32 v27, v37, v53
	v_fmac_f32_e32 v29, v30, v2
	s_waitcnt vmcnt(2)
	v_mul_f32_e32 v26, v44, v9
	v_fma_f32 v72, v43, v8, -v26
	v_mul_f32_e32 v26, v46, v11
	v_fma_f32 v74, v45, v10, -v26
	s_waitcnt vmcnt(1)
	v_mul_f32_e32 v26, v50, v13
	v_fma_f32 v75, v49, v12, -v26
	v_mul_f32_e32 v26, v48, v15
	v_fma_f32 v77, v47, v14, -v26
	s_waitcnt vmcnt(0)
	v_mul_f32_e32 v26, v52, v17
	v_fma_f32 v79, v51, v16, -v26
	v_mul_f32_e32 v80, v51, v17
	v_mul_f32_e32 v26, v34, v19
	v_fmac_f32_e32 v80, v52, v16
	v_fma_f32 v52, v33, v18, -v26
	v_add_f32_e32 v26, v20, v37
	v_fma_f32 v20, -0.5, v27, v20
	v_mul_f32_e32 v81, v33, v19
	v_sub_f32_e32 v27, v38, v29
	v_mov_b32_e32 v33, v20
	v_fmac_f32_e32 v33, 0x3f5db3d7, v27
	v_fmac_f32_e32 v20, 0xbf5db3d7, v27
	v_add_f32_e32 v27, v21, v38
	v_add_f32_e32 v27, v27, v29
	;; [unrolled: 1-line block ×3, first 2 shown]
	v_fma_f32 v21, -0.5, v29, v21
	v_fmac_f32_e32 v81, v34, v18
	v_sub_f32_e32 v29, v37, v53
	v_mov_b32_e32 v34, v21
	v_fmac_f32_e32 v34, 0xbf5db3d7, v29
	v_fmac_f32_e32 v21, 0x3f5db3d7, v29
	v_add_f32_e32 v29, v22, v54
	v_mul_f32_e32 v71, v31, v7
	v_add_f32_e32 v37, v29, v42
	v_add_f32_e32 v29, v54, v42
	v_fmac_f32_e32 v71, v32, v6
	v_fma_f32 v22, -0.5, v29, v22
	v_sub_f32_e32 v29, v70, v71
	v_mov_b32_e32 v41, v22
	v_fmac_f32_e32 v41, 0x3f5db3d7, v29
	v_fmac_f32_e32 v22, 0xbf5db3d7, v29
	v_add_f32_e32 v29, v23, v70
	v_add_f32_e32 v38, v29, v71
	ds_read2_b64 v[29:32], v173 offset0:126 offset1:189
	v_mul_f32_e32 v73, v43, v9
	v_add_f32_e32 v43, v70, v71
	v_fmac_f32_e32 v23, -0.5, v43
	v_sub_f32_e32 v43, v54, v42
	v_mov_b32_e32 v42, v23
	v_fmac_f32_e32 v42, 0xbf5db3d7, v43
	v_fmac_f32_e32 v23, 0x3f5db3d7, v43
	v_add_f32_e32 v43, v72, v74
	v_fmac_f32_e32 v73, v44, v8
	v_mul_f32_e32 v44, v45, v11
	s_waitcnt lgkmcnt(0)
	v_fma_f32 v43, -0.5, v43, v29
	v_add_f32_e32 v29, v29, v72
	v_fmac_f32_e32 v44, v46, v10
	v_mul_f32_e32 v78, v47, v15
	v_add_f32_e32 v47, v29, v74
	v_add_f32_e32 v29, v30, v73
	v_fmac_f32_e32 v78, v48, v14
	v_add_f32_e32 v48, v29, v44
	v_add_f32_e32 v29, v73, v44
	v_sub_f32_e32 v46, v73, v44
	v_mov_b32_e32 v45, v43
	v_fma_f32 v44, -0.5, v29, v30
	v_fmac_f32_e32 v45, 0x3f5db3d7, v46
	v_fmac_f32_e32 v43, 0xbf5db3d7, v46
	v_sub_f32_e32 v29, v72, v74
	v_mov_b32_e32 v46, v44
	v_mul_f32_e32 v76, v49, v13
	v_fmac_f32_e32 v46, 0xbf5db3d7, v29
	v_fmac_f32_e32 v44, 0x3f5db3d7, v29
	v_add_f32_e32 v29, v75, v77
	v_fmac_f32_e32 v76, v50, v12
	v_add_f32_e32 v30, v31, v75
	v_fma_f32 v31, -0.5, v29, v31
	v_sub_f32_e32 v49, v76, v78
	v_mov_b32_e32 v29, v31
	v_fmac_f32_e32 v29, 0x3f5db3d7, v49
	v_fmac_f32_e32 v31, 0xbf5db3d7, v49
	v_add_f32_e32 v49, v30, v77
	v_add_f32_e32 v30, v32, v76
	;; [unrolled: 1-line block ×4, first 2 shown]
	v_fmac_f32_e32 v32, -0.5, v30
	v_add_f32_e32 v26, v26, v53
	v_sub_f32_e32 v51, v75, v77
	v_mov_b32_e32 v30, v32
	v_fmac_f32_e32 v30, 0xbf5db3d7, v51
	v_fmac_f32_e32 v32, 0x3f5db3d7, v51
	v_add_f32_e32 v51, v79, v52
	s_waitcnt lgkmcnt(0)
	; wave barrier
	ds_write2_b64 v180, v[26:27], v[33:34] offset1:3
	ds_write_b64 v180, v[20:21] offset:48
	v_mul_u32_u24_e32 v20, 9, v55
	v_add_f32_e32 v53, v24, v79
	v_fma_f32 v24, -0.5, v51, v24
	v_add_lshl_u32 v181, v20, v56, 3
	v_mul_u32_u24_e32 v20, 9, v57
	v_sub_f32_e32 v54, v80, v81
	v_mov_b32_e32 v51, v24
	v_add_f32_e32 v70, v80, v81
	v_add_lshl_u32 v182, v20, v58, 3
	v_mul_u32_u24_e32 v20, 9, v59
	v_fmac_f32_e32 v51, 0x3f5db3d7, v54
	v_fmac_f32_e32 v24, 0xbf5db3d7, v54
	v_add_f32_e32 v54, v25, v80
	v_fmac_f32_e32 v25, -0.5, v70
	v_add_lshl_u32 v183, v20, v67, 3
	v_add_f32_e32 v53, v53, v52
	v_sub_f32_e32 v70, v79, v52
	v_mov_b32_e32 v52, v25
	ds_write2_b64 v181, v[37:38], v[41:42] offset1:3
	ds_write_b64 v181, v[22:23] offset:48
	ds_write2_b64 v182, v[47:48], v[45:46] offset1:3
	ds_write_b64 v182, v[43:44] offset:48
	;; [unrolled: 2-line block ×3, first 2 shown]
	v_mad_legacy_u16 v20, v68, 9, v69
	v_mov_b32_e32 v29, 57
	v_add_f32_e32 v54, v54, v81
	v_fmac_f32_e32 v52, 0xbf5db3d7, v70
	v_lshlrev_b32_e32 v184, 3, v20
	v_mul_lo_u16_sdwa v20, v174, v29 dst_sel:DWORD dst_unused:UNUSED_PAD src0_sel:BYTE_0 src1_sel:DWORD
	v_mul_lo_u16_sdwa v21, v40, v29 dst_sel:DWORD dst_unused:UNUSED_PAD src0_sel:BYTE_0 src1_sel:DWORD
	;; [unrolled: 1-line block ×4, first 2 shown]
	v_fmac_f32_e32 v25, 0x3f5db3d7, v70
	ds_write2_b64 v184, v[53:54], v[51:52] offset1:3
	ds_write_b64 v184, v[24:25] offset:48
	v_lshrrev_b16_e32 v53, 9, v20
	v_lshrrev_b16_e32 v59, 9, v30
	;; [unrolled: 1-line block ×3, first 2 shown]
	v_mul_lo_u16_e32 v20, 9, v53
	v_lshrrev_b16_e32 v57, 9, v21
	v_mul_lo_u16_e32 v30, 9, v59
	v_mul_lo_u16_e32 v29, 9, v68
	v_sub_u16_e32 v20, v174, v20
	v_mul_lo_u16_e32 v21, 9, v57
	v_sub_u16_e32 v30, v60, v30
	v_sub_u16_e32 v28, v28, v29
	v_and_b32_e32 v54, 0xff, v20
	v_sub_u16_e32 v21, v40, v21
	v_and_b32_e32 v67, 0xff, v30
	v_and_b32_e32 v69, 0xff, v28
	v_lshlrev_b32_e32 v20, 4, v54
	v_and_b32_e32 v58, 0xff, v21
	v_lshlrev_b32_e32 v30, 4, v67
	v_lshlrev_b32_e32 v28, 4, v69
	s_waitcnt lgkmcnt(0)
	; wave barrier
	s_waitcnt lgkmcnt(0)
	global_load_dwordx4 v[24:27], v20, s[14:15] offset:48
	global_load_dwordx4 v[32:35], v30, s[14:15] offset:48
	v_mul_u32_u24_sdwa v37, v36, s0 dst_sel:DWORD dst_unused:UNUSED_PAD src0_sel:WORD_0 src1_sel:DWORD
	global_load_dwordx4 v[28:31], v28, s[14:15] offset:48
	v_lshlrev_b32_e32 v20, 4, v58
	global_load_dwordx4 v[20:23], v20, s[14:15] offset:48
	v_lshrrev_b32_e32 v70, 19, v37
	v_mul_lo_u16_e32 v37, 9, v70
	v_sub_u16_e32 v71, v36, v37
	v_lshlrev_b16_e32 v36, 4, v71
	v_mov_b32_e32 v37, s15
	v_add_co_u32_e32 v36, vcc, s14, v36
	v_addc_co_u32_e32 v37, vcc, 0, v37, vcc
	global_load_dwordx4 v[36:39], v[36:37], off offset:48
	ds_read2_b64 v[41:44], v63 offset0:118 offset1:181
	ds_read2_b64 v[45:48], v62 offset0:122 offset1:185
	;; [unrolled: 1-line block ×3, first 2 shown]
	v_cmp_gt_u16_e64 s[0:1], 9, v174
	s_waitcnt vmcnt(4) lgkmcnt(2)
	v_mul_f32_e32 v55, v42, v27
	v_fma_f32 v55, v41, v26, -v55
	v_mul_f32_e32 v56, v41, v27
	v_fmac_f32_e32 v56, v42, v26
	s_waitcnt vmcnt(3) lgkmcnt(1)
	v_mul_f32_e32 v77, v47, v33
	s_waitcnt vmcnt(1)
	v_mul_f32_e32 v41, v46, v21
	v_fma_f32 v72, v45, v20, -v41
	v_mul_f32_e32 v41, v44, v23
	v_fma_f32 v73, v43, v22, -v41
	v_mul_f32_e32 v41, v48, v33
	v_mul_f32_e32 v74, v43, v23
	v_fma_f32 v76, v47, v32, -v41
	s_waitcnt lgkmcnt(0)
	v_mul_f32_e32 v41, v50, v35
	v_fmac_f32_e32 v74, v44, v22
	v_fma_f32 v78, v49, v34, -v41
	ds_read2_b64 v[41:44], v61 offset0:120 offset1:183
	v_mul_f32_e32 v75, v45, v21
	v_mul_f32_e32 v45, v52, v31
	v_fma_f32 v80, v51, v30, -v45
	v_fmac_f32_e32 v75, v46, v20
	s_waitcnt lgkmcnt(0)
	v_mul_f32_e32 v45, v42, v29
	v_fmac_f32_e32 v77, v48, v32
	v_fma_f32 v82, v41, v28, -v45
	ds_read2_b64 v[45:48], v66 offset0:124 offset1:187
	v_mul_f32_e32 v83, v41, v29
	s_waitcnt vmcnt(0)
	v_mul_f32_e32 v41, v44, v37
	v_mul_f32_e32 v85, v43, v37
	v_fmac_f32_e32 v83, v42, v28
	v_fma_f32 v84, v43, v36, -v41
	v_fmac_f32_e32 v85, v44, v36
	ds_read2_b64 v[41:44], v173 offset1:63
	v_mul_f32_e32 v79, v49, v35
	s_waitcnt lgkmcnt(1)
	v_mul_f32_e32 v49, v48, v25
	v_fma_f32 v49, v47, v24, -v49
	v_mul_f32_e32 v47, v47, v25
	v_fmac_f32_e32 v47, v48, v24
	s_waitcnt lgkmcnt(0)
	v_add_f32_e32 v48, v41, v49
	v_mul_f32_e32 v81, v51, v31
	v_add_f32_e32 v51, v48, v55
	v_add_f32_e32 v48, v42, v47
	v_sub_f32_e32 v86, v47, v56
	v_add_f32_e32 v47, v47, v56
	v_fmac_f32_e32 v81, v52, v30
	v_add_f32_e32 v52, v48, v56
	v_add_f32_e32 v48, v49, v55
	v_fma_f32 v42, -0.5, v47, v42
	v_mul_lo_u16_e32 v47, 27, v53
	v_fma_f32 v41, -0.5, v48, v41
	v_and_b32_e32 v47, 0xff, v47
	v_sub_f32_e32 v87, v49, v55
	v_add_lshl_u32 v185, v47, v54, 3
	v_mov_b32_e32 v53, v41
	v_mov_b32_e32 v54, v42
	v_fmac_f32_e32 v79, v50, v34
	v_fmac_f32_e32 v53, 0x3f5db3d7, v86
	;; [unrolled: 1-line block ×3, first 2 shown]
	ds_read_b64 v[55:56], v173 offset:7056
	ds_read2_b64 v[47:50], v173 offset0:126 offset1:189
	v_fmac_f32_e32 v41, 0xbf5db3d7, v86
	v_fmac_f32_e32 v42, 0x3f5db3d7, v87
	s_waitcnt lgkmcnt(0)
	; wave barrier
	s_waitcnt lgkmcnt(0)
	ds_write2_b64 v185, v[51:52], v[53:54] offset1:9
	ds_write_b64 v185, v[41:42] offset:144
	v_add_f32_e32 v42, v72, v73
	v_add_f32_e32 v51, v75, v74
	;; [unrolled: 1-line block ×3, first 2 shown]
	v_fma_f32 v43, -0.5, v42, v43
	v_add_f32_e32 v42, v44, v75
	v_sub_f32_e32 v53, v75, v74
	v_fmac_f32_e32 v44, -0.5, v51
	v_sub_f32_e32 v54, v72, v73
	v_mul_u32_u24_e32 v51, 27, v57
	v_add_lshl_u32 v186, v51, v58, 3
	v_mov_b32_e32 v51, v43
	v_mov_b32_e32 v52, v44
	v_fmac_f32_e32 v43, 0xbf5db3d7, v53
	v_fmac_f32_e32 v44, 0x3f5db3d7, v54
	v_add_f32_e32 v41, v41, v73
	v_add_f32_e32 v42, v42, v74
	v_fmac_f32_e32 v51, 0x3f5db3d7, v53
	v_fmac_f32_e32 v52, 0xbf5db3d7, v54
	ds_write_b64 v186, v[43:44] offset:144
	v_add_f32_e32 v44, v77, v79
	v_add_f32_e32 v43, v76, v78
	ds_write2_b64 v186, v[41:42], v[51:52] offset1:9
	v_add_f32_e32 v41, v47, v76
	v_fma_f32 v43, -0.5, v43, v47
	v_fma_f32 v44, -0.5, v44, v48
	v_mul_u32_u24_e32 v47, 27, v59
	v_add_f32_e32 v42, v48, v77
	v_sub_f32_e32 v51, v77, v79
	v_sub_f32_e32 v52, v76, v78
	v_add_lshl_u32 v187, v47, v67, 3
	v_mov_b32_e32 v47, v43
	v_mov_b32_e32 v48, v44
	v_add_f32_e32 v41, v41, v78
	v_add_f32_e32 v42, v42, v79
	v_fmac_f32_e32 v47, 0x3f5db3d7, v51
	v_fmac_f32_e32 v48, 0xbf5db3d7, v52
	ds_write2_b64 v187, v[41:42], v[47:48] offset1:9
	v_mul_f32_e32 v41, v56, v39
	v_fma_f32 v57, v55, v38, -v41
	v_add_f32_e32 v41, v82, v80
	v_add_f32_e32 v42, v49, v82
	v_fma_f32 v49, -0.5, v41, v49
	v_sub_f32_e32 v47, v83, v81
	v_mov_b32_e32 v41, v49
	v_fmac_f32_e32 v41, 0x3f5db3d7, v47
	v_fmac_f32_e32 v49, 0xbf5db3d7, v47
	v_add_f32_e32 v47, v42, v80
	v_add_f32_e32 v42, v50, v83
	;; [unrolled: 1-line block ×4, first 2 shown]
	v_fmac_f32_e32 v43, 0xbf5db3d7, v51
	v_fmac_f32_e32 v44, 0x3f5db3d7, v52
	v_fmac_f32_e32 v50, -0.5, v42
	v_sub_f32_e32 v51, v82, v80
	v_mov_b32_e32 v42, v50
	ds_write_b64 v187, v[43:44] offset:144
	v_mul_u32_u24_e32 v43, 27, v68
	v_mul_f32_e32 v55, v55, v39
	v_fmac_f32_e32 v42, 0xbf5db3d7, v51
	v_fmac_f32_e32 v50, 0x3f5db3d7, v51
	v_add_f32_e32 v51, v84, v57
	v_add_lshl_u32 v188, v43, v69, 3
	v_fmac_f32_e32 v55, v56, v38
	v_add_f32_e32 v52, v45, v84
	v_fma_f32 v45, -0.5, v51, v45
	ds_write2_b64 v188, v[47:48], v[41:42] offset1:9
	ds_write_b64 v188, v[49:50] offset:144
	v_mad_legacy_u16 v41, v70, 27, v71
	v_mov_b32_e32 v75, 19
	v_sub_f32_e32 v53, v85, v55
	v_mov_b32_e32 v51, v45
	v_lshlrev_b32_e32 v189, 3, v41
	v_mul_lo_u16_sdwa v41, v174, v75 dst_sel:DWORD dst_unused:UNUSED_PAD src0_sel:BYTE_0 src1_sel:DWORD
	v_fmac_f32_e32 v51, 0x3f5db3d7, v53
	v_fmac_f32_e32 v45, 0xbf5db3d7, v53
	v_add_f32_e32 v53, v52, v57
	v_add_f32_e32 v52, v46, v85
	v_lshrrev_b16_e32 v76, 9, v41
	v_add_f32_e32 v54, v52, v55
	v_add_f32_e32 v52, v85, v55
	v_mul_lo_u16_e32 v41, 27, v76
	v_fmac_f32_e32 v46, -0.5, v52
	v_sub_u16_e32 v41, v174, v41
	v_sub_f32_e32 v55, v84, v57
	v_mov_b32_e32 v52, v46
	v_and_b32_e32 v79, 0xff, v41
	v_fmac_f32_e32 v52, 0xbf5db3d7, v55
	v_lshlrev_b32_e32 v56, 5, v79
	v_fmac_f32_e32 v46, 0x3f5db3d7, v55
	ds_write2_b64 v189, v[53:54], v[51:52] offset1:9
	ds_write_b64 v189, v[45:46] offset:144
	s_waitcnt lgkmcnt(0)
	; wave barrier
	s_waitcnt lgkmcnt(0)
	global_load_dwordx4 v[48:51], v56, s[14:15] offset:192
	v_mul_lo_u16_sdwa v41, v40, v75 dst_sel:DWORD dst_unused:UNUSED_PAD src0_sel:BYTE_0 src1_sel:DWORD
	v_lshrrev_b16_e32 v96, 9, v41
	v_mul_lo_u16_e32 v41, 27, v96
	v_sub_u16_e32 v40, v40, v41
	v_and_b32_e32 v97, 0xff, v40
	v_lshlrev_b32_e32 v57, 5, v97
	global_load_dwordx4 v[40:43], v57, s[14:15] offset:192
	global_load_dwordx4 v[52:55], v56, s[14:15] offset:208
	;; [unrolled: 1-line block ×3, first 2 shown]
	ds_read2_b64 v[56:59], v62 offset0:122 offset1:185
	ds_read2_b64 v[71:74], v61 offset0:120 offset1:183
	s_waitcnt vmcnt(3) lgkmcnt(1)
	v_mul_f32_e32 v67, v57, v51
	v_fma_f32 v98, v56, v50, -v67
	ds_read2_b64 v[67:70], v64 offset0:116 offset1:179
	v_mul_f32_e32 v99, v56, v51
	v_fmac_f32_e32 v99, v57, v50
	s_waitcnt vmcnt(2)
	v_mul_f32_e32 v56, v59, v43
	v_fma_f32 v100, v58, v42, -v56
	v_mul_f32_e32 v101, v58, v43
	s_waitcnt vmcnt(1) lgkmcnt(0)
	v_mul_f32_e32 v56, v68, v55
	v_fmac_f32_e32 v101, v59, v42
	v_fma_f32 v102, v67, v54, -v56
	ds_read2_b64 v[56:59], v173 offset0:126 offset1:189
	v_mul_f32_e32 v103, v67, v55
	s_waitcnt vmcnt(0)
	v_mul_f32_e32 v67, v70, v47
	v_fma_f32 v104, v69, v46, -v67
	v_fmac_f32_e32 v103, v68, v54
	s_waitcnt lgkmcnt(0)
	v_mul_f32_e32 v67, v59, v49
	v_fma_f32 v106, v58, v48, -v67
	v_mul_f32_e32 v67, v74, v53
	v_fma_f32 v107, v73, v52, -v67
	v_mul_f32_e32 v105, v69, v47
	v_sub_f32_e32 v67, v106, v98
	v_sub_f32_e32 v68, v102, v107
	v_fmac_f32_e32 v105, v70, v46
	v_add_f32_e32 v108, v67, v68
	ds_read2_b64 v[67:70], v173 offset1:63
	v_mul_f32_e32 v110, v73, v53
	v_mul_f32_e32 v109, v58, v49
	v_fmac_f32_e32 v110, v74, v52
	v_add_f32_e32 v73, v98, v107
	v_fmac_f32_e32 v109, v59, v48
	s_waitcnt lgkmcnt(0)
	v_fma_f32 v77, -0.5, v73, v67
	v_add_f32_e32 v73, v99, v110
	v_fma_f32 v78, -0.5, v73, v68
	v_sub_f32_e32 v73, v109, v99
	v_sub_f32_e32 v74, v103, v110
	v_add_f32_e32 v111, v73, v74
	v_mul_u32_u24_e32 v73, 0x87, v76
	v_add_lshl_u32 v190, v73, v79, 3
	v_mul_lo_u16_sdwa v73, v60, v75 dst_sel:DWORD dst_unused:UNUSED_PAD src0_sel:BYTE_0 src1_sel:DWORD
	v_lshrrev_b16_e32 v79, 9, v73
	v_mul_lo_u16_e32 v73, 27, v79
	v_sub_u16_e32 v73, v60, v73
	v_and_b32_e32 v112, 0xff, v73
	v_lshlrev_b32_e32 v84, 5, v112
	ds_read_b64 v[90:91], v173 offset:7056
	ds_read2_b64 v[73:76], v66 offset0:124 offset1:187
	global_load_dwordx4 v[80:83], v84, s[14:15] offset:208
	global_load_dwordx4 v[92:95], v84, s[14:15] offset:192
	v_add_f32_e32 v58, v67, v106
	v_add_f32_e32 v59, v68, v109
	v_sub_f32_e32 v113, v109, v103
	v_mov_b32_e32 v88, v77
	v_mov_b32_e32 v89, v78
	v_sub_f32_e32 v115, v106, v102
	v_add_f32_e32 v58, v58, v98
	v_add_f32_e32 v59, v59, v99
	v_fmac_f32_e32 v88, 0x3f737871, v113
	v_sub_f32_e32 v114, v99, v110
	v_fmac_f32_e32 v89, 0xbf737871, v115
	v_sub_f32_e32 v116, v98, v107
	v_add_f32_e32 v58, v58, v107
	v_add_f32_e32 v59, v59, v110
	v_fmac_f32_e32 v88, 0x3f167918, v114
	v_fmac_f32_e32 v89, 0xbf167918, v116
	v_add_f32_e32 v58, v58, v102
	v_add_f32_e32 v59, v59, v103
	v_fmac_f32_e32 v88, 0x3e9e377a, v108
	v_fmac_f32_e32 v89, 0x3e9e377a, v111
	ds_read2_b64 v[84:87], v63 offset0:118 offset1:181
	s_waitcnt lgkmcnt(0)
	; wave barrier
	s_waitcnt lgkmcnt(0)
	ds_write2_b64 v190, v[58:59], v[88:89] offset1:27
	v_sub_f32_e32 v58, v98, v106
	v_add_f32_e32 v59, v106, v102
	v_sub_f32_e32 v66, v107, v102
	v_add_f32_e32 v88, v58, v66
	v_fma_f32 v58, -0.5, v59, v67
	v_add_f32_e32 v59, v109, v103
	v_fma_f32 v59, -0.5, v59, v68
	v_sub_f32_e32 v67, v99, v109
	v_sub_f32_e32 v68, v110, v103
	v_mov_b32_e32 v66, v58
	v_add_f32_e32 v68, v67, v68
	v_mov_b32_e32 v67, v59
	v_fmac_f32_e32 v66, 0xbf737871, v114
	v_fmac_f32_e32 v58, 0x3f737871, v114
	;; [unrolled: 1-line block ×14, first 2 shown]
	ds_write2_b64 v190, v[66:67], v[58:59] offset0:54 offset1:81
	v_fmac_f32_e32 v77, 0xbf167918, v114
	v_fmac_f32_e32 v78, 0x3f167918, v116
	v_mul_f32_e32 v58, v74, v41
	v_fmac_f32_e32 v77, 0x3e9e377a, v108
	v_fmac_f32_e32 v78, 0x3e9e377a, v111
	v_fma_f32 v68, v73, v40, -v58
	v_mul_f32_e32 v58, v85, v45
	ds_write_b64 v190, v[77:78] offset:864
	v_fma_f32 v77, v84, v44, -v58
	v_mul_f32_e32 v73, v73, v41
	v_add_f32_e32 v58, v100, v77
	v_add_f32_e32 v59, v68, v104
	v_fmac_f32_e32 v73, v74, v40
	v_mul_f32_e32 v74, v84, v45
	v_add_f32_e32 v78, v69, v68
	v_fma_f32 v58, -0.5, v58, v69
	v_fma_f32 v69, -0.5, v59, v69
	v_sub_f32_e32 v59, v100, v68
	v_sub_f32_e32 v66, v77, v104
	v_fmac_f32_e32 v74, v85, v44
	v_add_f32_e32 v59, v59, v66
	v_sub_f32_e32 v84, v101, v74
	v_mov_b32_e32 v66, v69
	v_fmac_f32_e32 v66, 0xbf737871, v84
	v_sub_f32_e32 v85, v73, v105
	v_fmac_f32_e32 v69, 0x3f737871, v84
	v_fmac_f32_e32 v66, 0x3f167918, v85
	;; [unrolled: 1-line block ×5, first 2 shown]
	v_add_f32_e32 v59, v101, v74
	v_add_f32_e32 v67, v73, v105
	v_fma_f32 v59, -0.5, v59, v70
	v_add_f32_e32 v88, v70, v73
	v_fmac_f32_e32 v70, -0.5, v67
	v_sub_f32_e32 v67, v101, v73
	v_sub_f32_e32 v89, v74, v105
	v_add_f32_e32 v89, v67, v89
	v_mov_b32_e32 v67, v70
	v_sub_f32_e32 v98, v100, v77
	v_fmac_f32_e32 v67, 0x3f737871, v98
	v_sub_f32_e32 v99, v68, v104
	v_fmac_f32_e32 v70, 0xbf737871, v98
	v_fmac_f32_e32 v67, 0xbf167918, v99
	v_fmac_f32_e32 v70, 0x3f167918, v99
	v_fmac_f32_e32 v67, 0x3e9e377a, v89
	v_fmac_f32_e32 v70, 0x3e9e377a, v89
	v_mul_u32_u24_e32 v89, 0x87, v96
	v_add_lshl_u32 v191, v89, v97, 3
	ds_write2_b64 v191, v[66:67], v[69:70] offset0:54 offset1:81
	s_waitcnt vmcnt(0)
	v_mul_f32_e32 v66, v76, v93
	v_fma_f32 v70, v75, v92, -v66
	v_mul_f32_e32 v75, v75, v93
	v_mul_f32_e32 v66, v72, v95
	v_fmac_f32_e32 v75, v76, v92
	v_fma_f32 v76, v71, v94, -v66
	v_mul_f32_e32 v71, v71, v95
	v_mul_f32_e32 v66, v87, v81
	v_fmac_f32_e32 v71, v72, v94
	v_fma_f32 v72, v86, v80, -v66
	v_add_f32_e32 v66, v78, v100
	v_sub_f32_e32 v67, v68, v100
	v_sub_f32_e32 v68, v104, v77
	v_add_f32_e32 v66, v66, v77
	v_add_f32_e32 v77, v67, v68
	v_sub_f32_e32 v68, v73, v101
	v_sub_f32_e32 v69, v105, v74
	v_add_f32_e32 v73, v68, v69
	v_mov_b32_e32 v68, v58
	v_mov_b32_e32 v69, v59
	v_add_f32_e32 v67, v88, v101
	v_fmac_f32_e32 v68, 0x3f737871, v85
	v_fmac_f32_e32 v69, 0xbf737871, v99
	v_add_f32_e32 v67, v67, v74
	v_fmac_f32_e32 v68, 0x3f167918, v84
	v_fmac_f32_e32 v69, 0xbf167918, v98
	v_add_f32_e32 v66, v66, v104
	v_add_f32_e32 v67, v67, v105
	v_fmac_f32_e32 v68, 0x3e9e377a, v77
	v_fmac_f32_e32 v69, 0x3e9e377a, v73
	;; [unrolled: 1-line block ×4, first 2 shown]
	ds_write2_b64 v191, v[66:67], v[68:69] offset1:27
	v_mul_f32_e32 v66, v91, v83
	v_fmac_f32_e32 v58, 0xbf167918, v84
	v_fmac_f32_e32 v59, 0x3f167918, v98
	v_fma_f32 v66, v90, v82, -v66
	v_fmac_f32_e32 v58, 0x3e9e377a, v77
	v_fmac_f32_e32 v59, 0x3e9e377a, v73
	v_mul_f32_e32 v86, v86, v81
	ds_write_b64 v191, v[58:59] offset:864
	v_add_f32_e32 v58, v76, v72
	v_add_f32_e32 v59, v70, v66
	v_fmac_f32_e32 v86, v87, v80
	v_mul_f32_e32 v67, v90, v83
	v_add_f32_e32 v68, v56, v70
	v_fma_f32 v100, -0.5, v58, v56
	v_fma_f32 v56, -0.5, v59, v56
	v_sub_f32_e32 v58, v76, v70
	v_sub_f32_e32 v59, v72, v66
	v_fmac_f32_e32 v67, v91, v82
	v_add_f32_e32 v59, v58, v59
	v_sub_f32_e32 v69, v71, v86
	v_mov_b32_e32 v58, v56
	v_fmac_f32_e32 v58, 0xbf737871, v69
	v_sub_f32_e32 v73, v75, v67
	v_fmac_f32_e32 v56, 0x3f737871, v69
	v_fmac_f32_e32 v58, 0x3f167918, v73
	;; [unrolled: 1-line block ×5, first 2 shown]
	v_add_f32_e32 v59, v71, v86
	v_fma_f32 v101, -0.5, v59, v57
	v_add_f32_e32 v59, v75, v67
	v_add_f32_e32 v74, v57, v75
	v_fmac_f32_e32 v57, -0.5, v59
	v_sub_f32_e32 v59, v71, v75
	v_sub_f32_e32 v77, v86, v67
	v_add_f32_e32 v77, v59, v77
	v_mov_b32_e32 v59, v57
	v_sub_f32_e32 v78, v76, v72
	v_fmac_f32_e32 v59, 0x3f737871, v78
	v_sub_f32_e32 v84, v70, v66
	v_fmac_f32_e32 v57, 0xbf737871, v78
	v_fmac_f32_e32 v59, 0xbf167918, v84
	;; [unrolled: 1-line block ×5, first 2 shown]
	v_mul_u32_u24_e32 v77, 0x87, v79
	v_add_lshl_u32 v192, v77, v112, 3
	ds_write2_b64 v192, v[58:59], v[56:57] offset0:54 offset1:81
	v_add_f32_e32 v56, v68, v76
	v_sub_f32_e32 v57, v70, v76
	v_sub_f32_e32 v58, v66, v72
	v_add_f32_e32 v56, v56, v72
	v_add_f32_e32 v68, v57, v58
	v_sub_f32_e32 v58, v75, v71
	v_sub_f32_e32 v59, v67, v86
	v_add_f32_e32 v56, v56, v66
	v_add_f32_e32 v66, v58, v59
	v_mov_b32_e32 v58, v100
	v_mov_b32_e32 v59, v101
	v_add_f32_e32 v57, v74, v71
	v_fmac_f32_e32 v58, 0x3f737871, v73
	v_fmac_f32_e32 v59, 0xbf737871, v84
	v_fmac_f32_e32 v100, 0xbf737871, v73
	v_fmac_f32_e32 v101, 0x3f737871, v84
	v_add_f32_e32 v57, v57, v86
	v_fmac_f32_e32 v58, 0x3f167918, v69
	v_fmac_f32_e32 v59, 0xbf167918, v78
	v_fmac_f32_e32 v100, 0xbf167918, v69
	v_fmac_f32_e32 v101, 0x3f167918, v78
	;; [unrolled: 5-line block ×3, first 2 shown]
	ds_write2_b64 v192, v[56:57], v[58:59] offset1:27
	ds_write_b64 v192, v[100:101] offset:864
	s_waitcnt lgkmcnt(0)
	; wave barrier
	s_waitcnt lgkmcnt(0)
	ds_read2_b64 v[128:131], v62 offset0:14 offset1:77
	ds_read2_b64 v[120:123], v62 offset0:149 offset1:212
	;; [unrolled: 1-line block ×5, first 2 shown]
	ds_read2_b64 v[104:107], v173 offset1:63
	ds_read2_b64 v[136:139], v173 offset0:135 offset1:198
	s_and_saveexec_b64 s[4:5], s[0:1]
	s_cbranch_execz .LBB0_3
; %bb.2:
	v_add_u32_e32 v56, 0x200, v173
	ds_read2_b64 v[100:103], v56 offset0:62 offset1:197
	ds_read2_b64 v[132:135], v61 offset0:12 offset1:147
	ds_read2_b64 v[124:127], v64 offset0:26 offset1:161
	ds_read_b64 v[171:172], v173 offset:7488
.LBB0_3:
	s_or_b64 exec, exec, s[4:5]
	v_add_u32_e32 v56, -9, v174
	v_mad_u64_u32 v[64:65], s[4:5], v174, 48, s[14:15]
	v_cndmask_b32_e64 v56, v56, v60, s[0:1]
	v_mul_hi_i32_i24_e32 v58, 48, v56
	v_mul_i32_i24_e32 v56, 48, v56
	v_mov_b32_e32 v57, s15
	v_add_co_u32_e32 v66, vcc, s14, v56
	v_addc_co_u32_e32 v67, vcc, v57, v58, vcc
	s_movk_i32 s4, 0xff0
	global_load_dwordx4 v[72:75], v[64:65], off offset:1056
	global_load_dwordx4 v[68:71], v[64:65], off offset:1072
	;; [unrolled: 1-line block ×4, first 2 shown]
	v_add_co_u32_e32 v64, vcc, s4, v64
	v_addc_co_u32_e32 v65, vcc, 0, v65, vcc
	global_load_dwordx4 v[56:59], v[66:67], off offset:1056
	global_load_dwordx4 v[60:63], v[66:67], off offset:1072
	;; [unrolled: 1-line block ×4, first 2 shown]
	s_nop 0
	global_load_dwordx4 v[64:67], v[66:67], off offset:1088
	s_mov_b32 s4, 0x3f5ff5aa
	s_mov_b32 s5, 0x3f3bfb3b
	s_mov_b32 s6, 0xbf3bfb3b
	s_mov_b32 s7, 0xbeae86e6
	s_waitcnt vmcnt(8) lgkmcnt(0)
	v_mul_f32_e32 v194, v136, v73
	v_mul_f32_e32 v193, v137, v73
	;; [unrolled: 1-line block ×3, first 2 shown]
	s_waitcnt vmcnt(5)
	v_mul_f32_e32 v208, v130, v87
	v_mul_f32_e32 v207, v131, v87
	v_fmac_f32_e32 v208, v131, v86
	v_mul_f32_e32 v197, v121, v69
	v_mul_f32_e32 v198, v120, v69
	s_waitcnt vmcnt(1)
	v_mul_f32_e32 v131, v115, v77
	v_mul_f32_e32 v201, v113, v97
	;; [unrolled: 1-line block ×3, first 2 shown]
	v_fmac_f32_e32 v194, v137, v72
	v_mul_f32_e32 v137, v114, v77
	v_fma_f32 v131, v114, v76, -v131
	s_waitcnt vmcnt(0)
	v_mul_f32_e32 v114, v127, v65
	v_mul_f32_e32 v196, v128, v75
	;; [unrolled: 1-line block ×8, first 2 shown]
	v_fma_f32 v136, v136, v72, -v193
	v_fma_f32 v128, v128, v74, -v195
	;; [unrolled: 1-line block ×3, first 2 shown]
	v_fmac_f32_e32 v198, v121, v68
	v_fma_f32 v112, v112, v96, -v201
	v_fma_f32 v108, v108, v98, -v203
	v_mul_f32_e32 v121, v119, v91
	v_fma_f32 v197, v126, v64, -v114
	v_mul_f32_e32 v114, v172, v67
	v_mul_f32_e32 v205, v139, v85
	;; [unrolled: 1-line block ×5, first 2 shown]
	v_fmac_f32_e32 v196, v129, v74
	v_fma_f32 v116, v116, v70, -v199
	v_fmac_f32_e32 v200, v117, v70
	v_fmac_f32_e32 v202, v113, v96
	;; [unrolled: 1-line block ×4, first 2 shown]
	v_fma_f32 v113, v130, v86, -v207
	v_mul_f32_e32 v117, v123, v89
	v_mul_f32_e32 v130, v118, v91
	;; [unrolled: 1-line block ×3, first 2 shown]
	v_fmac_f32_e32 v212, v133, v58
	v_fma_f32 v133, v118, v90, -v121
	v_fma_f32 v201, v171, v66, -v114
	v_add_f32_e32 v114, v136, v108
	v_add_f32_e32 v118, v128, v112
	v_mul_f32_e32 v209, v103, v57
	v_fma_f32 v109, v138, v84, -v205
	v_mul_f32_e32 v129, v122, v89
	v_mul_f32_e32 v138, v111, v79
	v_fmac_f32_e32 v210, v103, v56
	v_fma_f32 v103, v132, v58, -v211
	v_fma_f32 v195, v124, v62, -v215
	;; [unrolled: 1-line block ×3, first 2 shown]
	v_fmac_f32_e32 v130, v119, v90
	v_fmac_f32_e32 v137, v115, v76
	;; [unrolled: 1-line block ×3, first 2 shown]
	v_mul_f32_e32 v111, v124, v63
	v_add_f32_e32 v115, v194, v204
	v_add_f32_e32 v119, v196, v202
	v_sub_f32_e32 v112, v128, v112
	v_add_f32_e32 v122, v120, v116
	v_sub_f32_e32 v116, v116, v120
	v_add_f32_e32 v124, v118, v114
	v_mul_f32_e32 v213, v135, v61
	v_mul_f32_e32 v214, v134, v61
	v_fmac_f32_e32 v129, v123, v88
	v_fmac_f32_e32 v111, v125, v62
	v_mul_f32_e32 v199, v126, v65
	v_sub_f32_e32 v108, v136, v108
	v_sub_f32_e32 v121, v196, v202
	v_add_f32_e32 v123, v198, v200
	v_sub_f32_e32 v120, v200, v198
	v_add_f32_e32 v125, v119, v115
	v_sub_f32_e32 v126, v118, v114
	v_sub_f32_e32 v128, v114, v122
	;; [unrolled: 1-line block ×3, first 2 shown]
	v_add_f32_e32 v114, v116, v112
	v_add_f32_e32 v122, v122, v124
	v_fma_f32 v193, v134, v60, -v213
	v_fmac_f32_e32 v214, v135, v60
	v_fmac_f32_e32 v199, v127, v64
	v_sub_f32_e32 v117, v194, v204
	v_sub_f32_e32 v127, v119, v115
	;; [unrolled: 1-line block ×4, first 2 shown]
	v_add_f32_e32 v115, v120, v121
	v_sub_f32_e32 v135, v116, v112
	v_sub_f32_e32 v116, v108, v116
	;; [unrolled: 1-line block ×3, first 2 shown]
	v_add_f32_e32 v123, v123, v125
	v_add_f32_e32 v108, v114, v108
	;; [unrolled: 1-line block ×3, first 2 shown]
	v_fma_f32 v110, v110, v78, -v138
	v_sub_f32_e32 v136, v120, v121
	v_sub_f32_e32 v120, v117, v120
	;; [unrolled: 1-line block ×3, first 2 shown]
	v_add_f32_e32 v117, v115, v117
	v_add_f32_e32 v115, v105, v123
	v_mov_b32_e32 v138, v114
	v_mul_f32_e32 v104, 0x3f4a47b2, v128
	v_mul_f32_e32 v105, 0x3f4a47b2, v134
	;; [unrolled: 1-line block ×5, first 2 shown]
	v_fmac_f32_e32 v138, 0xbf955555, v122
	v_mov_b32_e32 v122, v115
	v_mul_f32_e32 v128, 0xbf08b237, v135
	v_mul_f32_e32 v135, 0x3f5ff5aa, v112
	;; [unrolled: 1-line block ×3, first 2 shown]
	v_fmac_f32_e32 v122, 0xbf955555, v123
	v_fma_f32 v123, v126, s5, -v124
	v_fma_f32 v124, v127, s5, -v125
	;; [unrolled: 1-line block ×3, first 2 shown]
	v_fmac_f32_e32 v104, 0x3d64c772, v118
	v_fma_f32 v126, v121, s4, -v134
	v_fmac_f32_e32 v134, 0x3eae86e6, v120
	v_fma_f32 v118, v127, s6, -v105
	v_fmac_f32_e32 v105, 0x3d64c772, v119
	v_fma_f32 v112, v112, s4, -v128
	v_fmac_f32_e32 v128, 0x3eae86e6, v116
	v_fma_f32 v127, v116, s7, -v135
	v_fma_f32 v135, v120, s7, -v136
	v_add_f32_e32 v104, v104, v138
	v_add_f32_e32 v123, v123, v138
	v_fmac_f32_e32 v134, 0x3ee1c552, v117
	v_fmac_f32_e32 v126, 0x3ee1c552, v117
	v_add_f32_e32 v105, v105, v122
	v_add_f32_e32 v124, v124, v122
	;; [unrolled: 1-line block ×4, first 2 shown]
	v_fmac_f32_e32 v128, 0x3ee1c552, v108
	v_fmac_f32_e32 v112, 0x3ee1c552, v108
	;; [unrolled: 1-line block ×4, first 2 shown]
	v_add_f32_e32 v116, v134, v104
	v_sub_f32_e32 v120, v123, v126
	v_add_f32_e32 v122, v126, v123
	v_sub_f32_e32 v126, v104, v134
	;; [unrolled: 2-line block ×6, first 2 shown]
	v_sub_f32_e32 v124, v125, v135
	v_add_f32_e32 v125, v127, v136
	v_add_f32_e32 v127, v128, v105
	;; [unrolled: 1-line block ×4, first 2 shown]
	v_sub_f32_e32 v113, v113, v131
	v_add_f32_e32 v131, v132, v133
	v_add_f32_e32 v134, v129, v130
	v_sub_f32_e32 v129, v130, v129
	v_add_f32_e32 v130, v110, v104
	v_sub_f32_e32 v109, v206, v139
	v_sub_f32_e32 v128, v208, v137
	;; [unrolled: 1-line block ×3, first 2 shown]
	v_add_f32_e32 v133, v112, v105
	v_add_f32_e32 v130, v131, v130
	v_mul_f32_e32 v203, v171, v67
	v_sub_f32_e32 v135, v110, v104
	v_sub_f32_e32 v104, v104, v131
	;; [unrolled: 1-line block ×3, first 2 shown]
	v_add_f32_e32 v137, v132, v113
	v_add_f32_e32 v138, v129, v128
	v_sub_f32_e32 v171, v129, v128
	v_sub_f32_e32 v194, v128, v109
	v_add_f32_e32 v131, v134, v133
	v_add_f32_e32 v128, v106, v130
	v_fmac_f32_e32 v203, v172, v66
	v_sub_f32_e32 v136, v112, v105
	v_sub_f32_e32 v105, v105, v134
	;; [unrolled: 1-line block ×7, first 2 shown]
	v_add_f32_e32 v108, v137, v108
	v_add_f32_e32 v129, v107, v131
	v_mov_b32_e32 v137, v128
	v_mul_f32_e32 v104, 0x3f4a47b2, v104
	v_mul_f32_e32 v105, 0x3f4a47b2, v105
	;; [unrolled: 1-line block ×5, first 2 shown]
	v_fmac_f32_e32 v137, 0xbf955555, v130
	v_mov_b32_e32 v130, v129
	v_add_f32_e32 v109, v138, v109
	v_mul_f32_e32 v106, 0x3d64c772, v110
	v_mul_f32_e32 v133, 0x3f5ff5aa, v113
	;; [unrolled: 1-line block ×3, first 2 shown]
	v_fmac_f32_e32 v130, 0xbf955555, v131
	v_fma_f32 v107, v136, s5, -v107
	v_fma_f32 v131, v135, s6, -v104
	v_fmac_f32_e32 v104, 0x3d64c772, v110
	v_fma_f32 v110, v136, s6, -v105
	v_fmac_f32_e32 v105, 0x3d64c772, v112
	v_fma_f32 v112, v113, s4, -v196
	v_fma_f32 v113, v194, s4, -v171
	v_fmac_f32_e32 v171, 0x3eae86e6, v172
	v_fma_f32 v102, v102, v56, -v209
	;; [unrolled: 3-line block ×3, first 2 shown]
	v_fma_f32 v138, v172, s7, -v134
	v_add_f32_e32 v104, v104, v137
	v_add_f32_e32 v107, v107, v130
	v_fmac_f32_e32 v171, 0x3ee1c552, v109
	v_fmac_f32_e32 v112, 0x3ee1c552, v108
	v_add_f32_e32 v105, v105, v130
	v_add_f32_e32 v106, v106, v137
	;; [unrolled: 1-line block ×4, first 2 shown]
	v_fmac_f32_e32 v196, 0x3ee1c552, v108
	v_fmac_f32_e32 v113, 0x3ee1c552, v109
	;; [unrolled: 1-line block ×4, first 2 shown]
	v_add_f32_e32 v130, v171, v104
	v_add_f32_e32 v135, v112, v107
	v_sub_f32_e32 v137, v107, v112
	v_sub_f32_e32 v171, v104, v171
	v_add_f32_e32 v104, v102, v201
	v_add_f32_e32 v107, v103, v197
	v_sub_f32_e32 v131, v105, v196
	v_add_f32_e32 v132, v138, v172
	v_sub_f32_e32 v133, v110, v139
	v_sub_f32_e32 v134, v106, v113
	v_add_f32_e32 v136, v113, v106
	v_sub_f32_e32 v138, v172, v138
	v_add_f32_e32 v139, v139, v110
	v_add_f32_e32 v172, v196, v105
	;; [unrolled: 1-line block ×5, first 2 shown]
	v_sub_f32_e32 v113, v195, v193
	v_add_f32_e32 v193, v107, v104
	v_add_f32_e32 v112, v214, v111
	;; [unrolled: 1-line block ×3, first 2 shown]
	v_sub_f32_e32 v195, v107, v104
	v_sub_f32_e32 v104, v104, v110
	;; [unrolled: 1-line block ×3, first 2 shown]
	v_add_f32_e32 v110, v110, v193
	v_sub_f32_e32 v102, v102, v201
	v_sub_f32_e32 v106, v210, v203
	;; [unrolled: 1-line block ×8, first 2 shown]
	v_add_f32_e32 v112, v112, v194
	v_add_f32_e32 v100, v100, v110
	;; [unrolled: 1-line block ×4, first 2 shown]
	v_sub_f32_e32 v199, v113, v103
	v_sub_f32_e32 v200, v111, v109
	;; [unrolled: 1-line block ×4, first 2 shown]
	v_add_f32_e32 v101, v101, v112
	v_mov_b32_e32 v201, v100
	v_sub_f32_e32 v113, v102, v113
	v_sub_f32_e32 v111, v106, v111
	v_add_f32_e32 v102, v197, v102
	v_add_f32_e32 v106, v198, v106
	v_mul_f32_e32 v104, 0x3f4a47b2, v104
	v_mul_f32_e32 v105, 0x3f4a47b2, v105
	;; [unrolled: 1-line block ×8, first 2 shown]
	v_fmac_f32_e32 v201, 0xbf955555, v110
	v_mov_b32_e32 v110, v101
	v_fmac_f32_e32 v110, 0xbf955555, v112
	v_fma_f32 v112, v195, s5, -v193
	v_fma_f32 v193, v196, s5, -v194
	;; [unrolled: 1-line block ×3, first 2 shown]
	v_fmac_f32_e32 v104, 0x3d64c772, v107
	v_fma_f32 v107, v196, s6, -v105
	v_fmac_f32_e32 v105, 0x3d64c772, v108
	v_fma_f32 v195, v103, s4, -v197
	;; [unrolled: 2-line block ×4, first 2 shown]
	v_fma_f32 v111, v111, s7, -v200
	v_add_f32_e32 v196, v104, v201
	v_add_f32_e32 v199, v105, v110
	;; [unrolled: 1-line block ×6, first 2 shown]
	v_fmac_f32_e32 v197, 0x3ee1c552, v102
	v_fmac_f32_e32 v198, 0x3ee1c552, v106
	;; [unrolled: 1-line block ×6, first 2 shown]
	v_add_f32_e32 v102, v198, v196
	v_sub_f32_e32 v103, v199, v197
	v_add_f32_e32 v104, v111, v193
	v_sub_f32_e32 v105, v194, v113
	v_sub_f32_e32 v106, v109, v108
	v_add_f32_e32 v107, v195, v112
	v_add_f32_e32 v108, v108, v109
	v_sub_f32_e32 v109, v112, v195
	v_sub_f32_e32 v110, v193, v111
	v_add_f32_e32 v111, v113, v194
	v_sub_f32_e32 v112, v196, v198
	v_add_f32_e32 v113, v197, v199
	ds_write_b64 v173, v[116:117] offset:1080
	ds_write_b64 v173, v[118:119] offset:2160
	;; [unrolled: 1-line block ×6, first 2 shown]
	ds_write2_b64 v173, v[114:115], v[128:129] offset1:63
	ds_write_b64 v173, v[130:131] offset:1584
	ds_write_b64 v173, v[132:133] offset:2664
	;; [unrolled: 1-line block ×6, first 2 shown]
	s_and_saveexec_b64 s[4:5], s[0:1]
	s_cbranch_execz .LBB0_5
; %bb.4:
	v_add_u32_e32 v114, 0x200, v173
	ds_write2_b64 v114, v[100:101], v[102:103] offset0:62 offset1:197
	v_add_u32_e32 v100, 0xc00, v173
	ds_write2_b64 v100, v[104:105], v[106:107] offset0:12 offset1:147
	;; [unrolled: 2-line block ×3, first 2 shown]
	ds_write_b64 v173, v[112:113] offset:7488
.LBB0_5:
	s_or_b64 exec, exec, s[4:5]
	v_lshlrev_b32_e32 v100, 3, v174
	v_mov_b32_e32 v101, s13
	v_add_co_u32_e32 v116, vcc, s12, v100
	v_addc_co_u32_e32 v117, vcc, 0, v101, vcc
	v_add_co_u32_e32 v100, vcc, 0x1d88, v116
	v_addc_co_u32_e32 v101, vcc, 0, v117, vcc
	v_add_co_u32_e32 v114, vcc, 0x1000, v116
	s_waitcnt lgkmcnt(0)
	; wave barrier
	s_waitcnt lgkmcnt(0)
	global_load_dwordx2 v[122:123], v[100:101], off offset:504
	v_addc_co_u32_e32 v115, vcc, 0, v117, vcc
	global_load_dwordx2 v[124:125], v[114:115], off offset:3464
	global_load_dwordx2 v[138:139], v[100:101], off offset:2520
	s_movk_i32 s4, 0x3000
	v_add_co_u32_e32 v114, vcc, s4, v116
	v_addc_co_u32_e32 v115, vcc, 0, v117, vcc
	global_load_dwordx2 v[171:172], v[114:115], off offset:312
	global_load_dwordx2 v[197:198], v[100:101], off offset:3024
	;; [unrolled: 1-line block ×10, first 2 shown]
	s_movk_i32 s4, 0x2000
	v_add_co_u32_e32 v100, vcc, s4, v116
	v_addc_co_u32_e32 v101, vcc, 0, v117, vcc
	global_load_dwordx2 v[215:216], v[100:101], off offset:3904
	global_load_dwordx2 v[217:218], v[114:115], off offset:2328
	ds_read2_b64 v[118:121], v173 offset1:63
	v_add_u32_e32 v100, 0x400, v173
	v_add_u32_e32 v116, 0x1000, v173
	;; [unrolled: 1-line block ×5, first 2 shown]
	s_waitcnt vmcnt(14) lgkmcnt(0)
	v_mul_f32_e32 v101, v121, v123
	v_mul_f32_e32 v220, v120, v123
	s_waitcnt vmcnt(13)
	v_mul_f32_e32 v126, v119, v125
	v_mul_f32_e32 v123, v118, v125
	v_fma_f32 v219, v120, v122, -v101
	v_fmac_f32_e32 v220, v121, v122
	v_fma_f32 v122, v118, v124, -v126
	v_fmac_f32_e32 v123, v119, v124
	ds_write_b64 v173, v[122:123]
	ds_read2_b64 v[118:121], v100 offset0:124 offset1:187
	ds_read2_b64 v[122:125], v116 offset0:118 offset1:181
	;; [unrolled: 1-line block ×6, first 2 shown]
	s_waitcnt vmcnt(12) lgkmcnt(5)
	v_mul_f32_e32 v101, v121, v139
	v_mul_f32_e32 v222, v120, v139
	s_waitcnt vmcnt(11) lgkmcnt(4)
	v_mul_f32_e32 v139, v122, v172
	v_mul_f32_e32 v223, v123, v172
	;; [unrolled: 3-line block ×3, first 2 shown]
	s_waitcnt vmcnt(9)
	v_mul_f32_e32 v225, v125, v200
	v_mul_f32_e32 v198, v124, v200
	s_waitcnt vmcnt(8) lgkmcnt(2)
	v_mul_f32_e32 v226, v131, v202
	v_mul_f32_e32 v200, v130, v202
	s_waitcnt vmcnt(7)
	v_mul_f32_e32 v227, v129, v204
	v_mul_f32_e32 v202, v128, v204
	v_fma_f32 v221, v120, v138, -v101
	v_fmac_f32_e32 v139, v123, v171
	s_waitcnt vmcnt(4) lgkmcnt(0)
	v_mul_f32_e32 v101, v194, v210
	v_mul_f32_e32 v123, v193, v210
	;; [unrolled: 1-line block ×4, first 2 shown]
	v_fmac_f32_e32 v222, v121, v138
	v_fma_f32 v138, v122, v171, -v223
	v_fma_f32 v171, v126, v197, -v224
	v_fmac_f32_e32 v172, v127, v197
	v_fma_f32 v197, v124, v199, -v225
	v_fmac_f32_e32 v198, v125, v199
	;; [unrolled: 2-line block ×5, first 2 shown]
	s_waitcnt vmcnt(3)
	v_mul_f32_e32 v101, v137, v212
	v_fma_f32 v203, v134, v205, -v228
	v_fmac_f32_e32 v204, v135, v205
	ds_write2_b64 v117, v[221:222], v[171:172] offset0:59 offset1:122
	ds_write2_b64 v173, v[219:220], v[199:200] offset0:63 offset1:126
	;; [unrolled: 1-line block ×4, first 2 shown]
	v_fma_f32 v122, v136, v211, -v101
	s_waitcnt vmcnt(2)
	v_mul_f32_e32 v101, v119, v214
	v_mul_f32_e32 v125, v118, v214
	v_fma_f32 v124, v118, v213, -v101
	v_fmac_f32_e32 v125, v119, v213
	ds_read_b64 v[118:119], v173 offset:7056
	v_mul_f32_e32 v206, v133, v208
	v_mul_f32_e32 v121, v132, v208
	v_fma_f32 v120, v132, v207, -v206
	v_fmac_f32_e32 v121, v133, v207
	ds_write2_b64 v173, v[120:121], v[124:125] offset0:189 offset1:252
	s_waitcnt vmcnt(1)
	v_mul_f32_e32 v101, v196, v216
	v_mul_f32_e32 v121, v195, v216
	v_fma_f32 v120, v195, v215, -v101
	v_fmac_f32_e32 v121, v196, v215
	v_mul_f32_e32 v123, v136, v212
	ds_write2_b64 v116, v[120:121], v[138:139] offset0:55 offset1:118
	s_waitcnt vmcnt(0) lgkmcnt(2)
	v_mul_f32_e32 v101, v119, v218
	v_mul_f32_e32 v121, v118, v218
	v_fmac_f32_e32 v123, v137, v211
	v_fma_f32 v120, v118, v217, -v101
	v_fmac_f32_e32 v121, v119, v217
	v_add_u32_e32 v118, 0x1800, v173
	ds_write2_b64 v118, v[122:123], v[120:121] offset0:51 offset1:114
	s_waitcnt lgkmcnt(0)
	; wave barrier
	s_waitcnt lgkmcnt(0)
	ds_read2_b64 v[119:122], v173 offset1:63
	ds_read2_b64 v[123:126], v100 offset0:124 offset1:187
	ds_read2_b64 v[127:130], v116 offset0:118 offset1:181
	;; [unrolled: 1-line block ×6, first 2 shown]
	ds_read_b64 v[171:172], v173 offset:7056
	s_waitcnt lgkmcnt(6)
	v_add_f32_e32 v101, v119, v125
	s_waitcnt lgkmcnt(5)
	v_add_f32_e32 v201, v101, v127
	v_add_f32_e32 v101, v125, v127
	v_fma_f32 v119, -0.5, v101, v119
	v_sub_f32_e32 v101, v126, v128
	v_mov_b32_e32 v203, v119
	v_fmac_f32_e32 v203, 0xbf5db3d7, v101
	v_fmac_f32_e32 v119, 0x3f5db3d7, v101
	v_add_f32_e32 v101, v120, v126
	v_add_f32_e32 v202, v101, v128
	;; [unrolled: 1-line block ×3, first 2 shown]
	v_fma_f32 v120, -0.5, v101, v120
	v_sub_f32_e32 v101, v125, v127
	v_mov_b32_e32 v204, v120
	v_fmac_f32_e32 v204, 0x3f5db3d7, v101
	v_fmac_f32_e32 v120, 0xbf5db3d7, v101
	s_waitcnt lgkmcnt(4)
	v_add_f32_e32 v101, v121, v131
	v_add_f32_e32 v125, v101, v129
	v_add_f32_e32 v101, v131, v129
	v_fma_f32 v121, -0.5, v101, v121
	v_sub_f32_e32 v101, v132, v130
	v_mov_b32_e32 v127, v121
	v_fmac_f32_e32 v127, 0xbf5db3d7, v101
	v_fmac_f32_e32 v121, 0x3f5db3d7, v101
	v_add_f32_e32 v101, v122, v132
	v_add_f32_e32 v126, v101, v130
	;; [unrolled: 1-line block ×3, first 2 shown]
	v_fmac_f32_e32 v122, -0.5, v101
	v_sub_f32_e32 v101, v131, v129
	v_mov_b32_e32 v128, v122
	v_fmac_f32_e32 v128, 0x3f5db3d7, v101
	v_fmac_f32_e32 v122, 0xbf5db3d7, v101
	s_waitcnt lgkmcnt(3)
	v_add_f32_e32 v101, v135, v133
	s_waitcnt lgkmcnt(2)
	v_add_f32_e32 v129, v101, v193
	v_add_f32_e32 v101, v133, v193
	v_fma_f32 v131, -0.5, v101, v135
	v_sub_f32_e32 v101, v134, v194
	v_mov_b32_e32 v135, v131
	v_fmac_f32_e32 v135, 0xbf5db3d7, v101
	v_fmac_f32_e32 v131, 0x3f5db3d7, v101
	v_add_f32_e32 v101, v136, v134
	v_add_f32_e32 v130, v101, v194
	;; [unrolled: 1-line block ×3, first 2 shown]
	v_fma_f32 v132, -0.5, v101, v136
	v_sub_f32_e32 v101, v133, v193
	v_mov_b32_e32 v136, v132
	v_fmac_f32_e32 v136, 0x3f5db3d7, v101
	v_fmac_f32_e32 v132, 0xbf5db3d7, v101
	s_waitcnt lgkmcnt(1)
	v_add_f32_e32 v101, v137, v197
	v_add_f32_e32 v133, v101, v195
	v_add_f32_e32 v101, v197, v195
	v_fma_f32 v137, -0.5, v101, v137
	v_sub_f32_e32 v101, v198, v196
	v_mov_b32_e32 v193, v137
	v_fmac_f32_e32 v193, 0xbf5db3d7, v101
	v_fmac_f32_e32 v137, 0x3f5db3d7, v101
	v_add_f32_e32 v101, v138, v198
	v_add_f32_e32 v134, v101, v196
	;; [unrolled: 1-line block ×3, first 2 shown]
	v_fmac_f32_e32 v138, -0.5, v101
	v_sub_f32_e32 v101, v197, v195
	v_mov_b32_e32 v194, v138
	v_fmac_f32_e32 v194, 0x3f5db3d7, v101
	v_fmac_f32_e32 v138, 0xbf5db3d7, v101
	v_add_f32_e32 v101, v123, v199
	s_waitcnt lgkmcnt(0)
	v_add_f32_e32 v195, v101, v171
	v_add_f32_e32 v101, v199, v171
	v_fma_f32 v123, -0.5, v101, v123
	v_sub_f32_e32 v101, v200, v172
	v_mov_b32_e32 v197, v123
	v_fmac_f32_e32 v197, 0xbf5db3d7, v101
	v_fmac_f32_e32 v123, 0x3f5db3d7, v101
	v_add_f32_e32 v101, v124, v200
	v_add_f32_e32 v196, v101, v172
	;; [unrolled: 1-line block ×3, first 2 shown]
	v_fmac_f32_e32 v124, -0.5, v101
	v_sub_f32_e32 v101, v199, v171
	v_mov_b32_e32 v198, v124
	v_fmac_f32_e32 v124, 0xbf5db3d7, v101
	v_fmac_f32_e32 v198, 0x3f5db3d7, v101
	s_waitcnt lgkmcnt(0)
	; wave barrier
	ds_write2_b64 v175, v[201:202], v[203:204] offset1:1
	ds_write_b64 v175, v[119:120] offset:16
	ds_write2_b64 v176, v[125:126], v[127:128] offset1:1
	ds_write_b64 v176, v[121:122] offset:16
	;; [unrolled: 2-line block ×5, first 2 shown]
	s_waitcnt lgkmcnt(0)
	; wave barrier
	s_waitcnt lgkmcnt(0)
	ds_read2_b64 v[119:122], v173 offset1:63
	ds_read2_b64 v[123:126], v100 offset0:124 offset1:187
	ds_read2_b64 v[127:130], v116 offset0:118 offset1:181
	;; [unrolled: 1-line block ×6, first 2 shown]
	ds_read_b64 v[171:172], v173 offset:7056
	s_waitcnt lgkmcnt(6)
	v_mul_f32_e32 v101, v1, v126
	v_mul_f32_e32 v1, v1, v125
	v_fmac_f32_e32 v101, v0, v125
	v_fma_f32 v125, v0, v126, -v1
	s_waitcnt lgkmcnt(5)
	v_mul_f32_e32 v126, v3, v128
	v_mul_f32_e32 v0, v3, v127
	v_fmac_f32_e32 v126, v2, v127
	v_fma_f32 v3, v2, v128, -v0
	;; [unrolled: 5-line block ×3, first 2 shown]
	v_mul_f32_e32 v131, v7, v130
	v_mul_f32_e32 v0, v7, v129
	v_fmac_f32_e32 v131, v6, v129
	v_fma_f32 v129, v6, v130, -v0
	v_mul_f32_e32 v0, v9, v133
	v_mul_f32_e32 v130, v9, v134
	v_fma_f32 v132, v8, v134, -v0
	s_waitcnt lgkmcnt(2)
	v_mul_f32_e32 v0, v11, v175
	v_fmac_f32_e32 v130, v8, v133
	v_mul_f32_e32 v133, v11, v176
	v_fma_f32 v134, v10, v176, -v0
	s_waitcnt lgkmcnt(1)
	v_mul_f32_e32 v0, v13, v193
	v_fmac_f32_e32 v133, v10, v175
	v_mul_f32_e32 v139, v13, v194
	v_fma_f32 v175, v12, v194, -v0
	v_mul_f32_e32 v176, v15, v178
	v_mul_f32_e32 v0, v15, v177
	v_add_f32_e32 v13, v132, v134
	v_fmac_f32_e32 v139, v12, v193
	v_fmac_f32_e32 v176, v14, v177
	v_fma_f32 v177, v14, v178, -v0
	v_mul_f32_e32 v178, v17, v196
	v_mul_f32_e32 v0, v17, v195
	v_fma_f32 v13, -0.5, v13, v136
	v_fmac_f32_e32 v178, v16, v195
	v_fma_f32 v179, v16, v196, -v0
	v_sub_f32_e32 v16, v130, v133
	v_mov_b32_e32 v15, v13
	v_add_f32_e32 v17, v139, v176
	s_waitcnt lgkmcnt(0)
	v_mul_f32_e32 v193, v19, v172
	v_mul_f32_e32 v0, v19, v171
	v_add_f32_e32 v1, v101, v126
	v_fmac_f32_e32 v15, 0x3f5db3d7, v16
	v_fmac_f32_e32 v13, 0xbf5db3d7, v16
	v_add_f32_e32 v16, v137, v139
	v_fma_f32 v137, -0.5, v17, v137
	v_fmac_f32_e32 v193, v18, v171
	v_fma_f32 v171, v18, v172, -v0
	v_fma_f32 v2, -0.5, v1, v119
	v_sub_f32_e32 v17, v175, v177
	v_mov_b32_e32 v18, v137
	v_add_f32_e32 v19, v175, v177
	v_sub_f32_e32 v1, v125, v3
	v_mov_b32_e32 v4, v2
	v_fmac_f32_e32 v18, 0xbf5db3d7, v17
	v_fmac_f32_e32 v137, 0x3f5db3d7, v17
	v_add_f32_e32 v17, v138, v175
	v_fmac_f32_e32 v138, -0.5, v19
	v_add_f32_e32 v0, v119, v101
	v_fmac_f32_e32 v4, 0xbf5db3d7, v1
	v_fmac_f32_e32 v2, 0x3f5db3d7, v1
	v_add_f32_e32 v1, v120, v125
	v_sub_f32_e32 v6, v101, v126
	v_sub_f32_e32 v101, v139, v176
	v_mov_b32_e32 v19, v138
	v_add_f32_e32 v1, v1, v3
	v_add_f32_e32 v3, v125, v3
	v_fmac_f32_e32 v19, 0x3f5db3d7, v101
	v_fmac_f32_e32 v138, 0xbf5db3d7, v101
	v_add_f32_e32 v101, v123, v178
	v_fma_f32 v3, -0.5, v3, v120
	v_add_f32_e32 v119, v101, v193
	v_add_f32_e32 v101, v178, v193
	v_mov_b32_e32 v5, v3
	v_add_f32_e32 v7, v127, v131
	v_fma_f32 v123, -0.5, v101, v123
	v_fmac_f32_e32 v5, 0x3f5db3d7, v6
	v_fmac_f32_e32 v3, 0xbf5db3d7, v6
	v_add_f32_e32 v6, v121, v127
	v_fma_f32 v121, -0.5, v7, v121
	v_sub_f32_e32 v101, v179, v171
	v_mov_b32_e32 v125, v123
	v_sub_f32_e32 v7, v128, v129
	v_mov_b32_e32 v8, v121
	v_add_f32_e32 v9, v128, v129
	v_add_f32_e32 v11, v130, v133
	v_fmac_f32_e32 v125, 0xbf5db3d7, v101
	v_fmac_f32_e32 v123, 0x3f5db3d7, v101
	v_add_f32_e32 v101, v124, v179
	v_fmac_f32_e32 v8, 0xbf5db3d7, v7
	v_fmac_f32_e32 v121, 0x3f5db3d7, v7
	v_add_f32_e32 v7, v122, v128
	v_fmac_f32_e32 v122, -0.5, v9
	v_fma_f32 v12, -0.5, v11, v135
	v_add_f32_e32 v120, v101, v171
	v_add_f32_e32 v101, v179, v171
	v_sub_f32_e32 v10, v127, v131
	v_mov_b32_e32 v9, v122
	v_sub_f32_e32 v11, v132, v134
	v_mov_b32_e32 v14, v12
	v_fmac_f32_e32 v124, -0.5, v101
	v_add_f32_e32 v0, v0, v126
	v_fmac_f32_e32 v9, 0x3f5db3d7, v10
	v_fmac_f32_e32 v122, 0xbf5db3d7, v10
	v_add_f32_e32 v10, v135, v130
	v_fmac_f32_e32 v14, 0xbf5db3d7, v11
	v_fmac_f32_e32 v12, 0x3f5db3d7, v11
	v_add_f32_e32 v11, v136, v132
	v_sub_f32_e32 v101, v178, v193
	v_mov_b32_e32 v126, v124
	v_add_f32_e32 v6, v6, v131
	v_add_f32_e32 v7, v7, v129
	;; [unrolled: 1-line block ×6, first 2 shown]
	v_fmac_f32_e32 v126, 0x3f5db3d7, v101
	v_fmac_f32_e32 v124, 0xbf5db3d7, v101
	s_waitcnt lgkmcnt(0)
	; wave barrier
	ds_write2_b64 v180, v[0:1], v[4:5] offset1:3
	ds_write_b64 v180, v[2:3] offset:48
	ds_write2_b64 v181, v[6:7], v[8:9] offset1:3
	ds_write_b64 v181, v[121:122] offset:48
	;; [unrolled: 2-line block ×5, first 2 shown]
	s_waitcnt lgkmcnt(0)
	; wave barrier
	s_waitcnt lgkmcnt(0)
	ds_read2_b64 v[0:3], v173 offset1:63
	ds_read2_b64 v[4:7], v100 offset0:124 offset1:187
	ds_read2_b64 v[8:11], v116 offset0:118 offset1:181
	ds_read2_b64 v[12:15], v117 offset0:122 offset1:185
	ds_read2_b64 v[16:19], v173 offset0:126 offset1:189
	ds_read2_b64 v[119:122], v114 offset0:116 offset1:179
	ds_read2_b64 v[123:126], v115 offset0:120 offset1:183
	ds_read_b64 v[127:128], v173 offset:7056
	s_waitcnt lgkmcnt(6)
	v_mul_f32_e32 v101, v25, v7
	v_fmac_f32_e32 v101, v24, v6
	v_mul_f32_e32 v6, v25, v6
	v_fma_f32 v24, v24, v7, -v6
	s_waitcnt lgkmcnt(5)
	v_mul_f32_e32 v6, v27, v8
	v_mul_f32_e32 v25, v27, v9
	v_fma_f32 v9, v26, v9, -v6
	s_waitcnt lgkmcnt(4)
	v_mul_f32_e32 v6, v21, v12
	v_fmac_f32_e32 v25, v26, v8
	v_mul_f32_e32 v26, v21, v13
	v_fma_f32 v13, v20, v13, -v6
	v_mul_f32_e32 v6, v23, v10
	v_fmac_f32_e32 v26, v20, v12
	v_mul_f32_e32 v20, v23, v11
	v_fma_f32 v21, v22, v11, -v6
	;; [unrolled: 4-line block ×3, first 2 shown]
	s_waitcnt lgkmcnt(2)
	v_mul_f32_e32 v6, v35, v119
	v_fmac_f32_e32 v22, v32, v14
	v_fma_f32 v32, v34, v120, -v6
	s_waitcnt lgkmcnt(1)
	v_mul_f32_e32 v33, v29, v124
	v_mul_f32_e32 v6, v29, v123
	v_fmac_f32_e32 v33, v28, v123
	v_fma_f32 v28, v28, v124, -v6
	v_mul_f32_e32 v29, v31, v122
	v_mul_f32_e32 v6, v31, v121
	;; [unrolled: 1-line block ×3, first 2 shown]
	v_fmac_f32_e32 v29, v30, v121
	v_fma_f32 v30, v30, v122, -v6
	v_mul_f32_e32 v6, v37, v125
	v_fmac_f32_e32 v27, v34, v119
	v_mul_f32_e32 v31, v37, v126
	v_fma_f32 v34, v36, v126, -v6
	s_waitcnt lgkmcnt(0)
	v_mul_f32_e32 v6, v39, v127
	v_add_f32_e32 v7, v101, v25
	v_fmac_f32_e32 v31, v36, v125
	v_fma_f32 v36, v38, v128, -v6
	v_add_f32_e32 v6, v0, v101
	v_fma_f32 v0, -0.5, v7, v0
	v_sub_f32_e32 v7, v24, v9
	v_mov_b32_e32 v8, v0
	v_fmac_f32_e32 v8, 0xbf5db3d7, v7
	v_fmac_f32_e32 v0, 0x3f5db3d7, v7
	v_add_f32_e32 v7, v1, v24
	v_add_f32_e32 v7, v7, v9
	;; [unrolled: 1-line block ×3, first 2 shown]
	v_fma_f32 v1, -0.5, v9, v1
	v_sub_f32_e32 v10, v101, v25
	v_mov_b32_e32 v9, v1
	v_add_f32_e32 v11, v26, v20
	v_fmac_f32_e32 v9, 0x3f5db3d7, v10
	v_fmac_f32_e32 v1, 0xbf5db3d7, v10
	v_add_f32_e32 v10, v2, v26
	v_fma_f32 v2, -0.5, v11, v2
	v_sub_f32_e32 v11, v13, v21
	v_mov_b32_e32 v12, v2
	v_fmac_f32_e32 v12, 0xbf5db3d7, v11
	v_fmac_f32_e32 v2, 0x3f5db3d7, v11
	v_add_f32_e32 v11, v3, v13
	v_add_f32_e32 v13, v13, v21
	v_fmac_f32_e32 v3, -0.5, v13
	v_sub_f32_e32 v14, v26, v20
	v_mov_b32_e32 v13, v3
	v_add_f32_e32 v15, v22, v27
	v_fmac_f32_e32 v13, 0x3f5db3d7, v14
	v_fmac_f32_e32 v3, 0xbf5db3d7, v14
	v_add_f32_e32 v14, v16, v22
	v_fma_f32 v16, -0.5, v15, v16
	v_add_f32_e32 v10, v10, v20
	v_add_f32_e32 v11, v11, v21
	v_sub_f32_e32 v15, v23, v32
	v_mov_b32_e32 v20, v16
	v_add_f32_e32 v21, v23, v32
	v_fmac_f32_e32 v20, 0xbf5db3d7, v15
	v_fmac_f32_e32 v16, 0x3f5db3d7, v15
	v_add_f32_e32 v15, v17, v23
	v_fma_f32 v17, -0.5, v21, v17
	v_sub_f32_e32 v22, v22, v27
	v_mov_b32_e32 v21, v17
	v_add_f32_e32 v23, v33, v29
	v_fmac_f32_e32 v21, 0x3f5db3d7, v22
	v_fmac_f32_e32 v17, 0xbf5db3d7, v22
	v_add_f32_e32 v22, v18, v33
	v_fma_f32 v18, -0.5, v23, v18
	v_mul_f32_e32 v35, v39, v128
	v_add_f32_e32 v6, v6, v25
	v_sub_f32_e32 v23, v28, v30
	v_mov_b32_e32 v24, v18
	v_add_f32_e32 v25, v28, v30
	v_fmac_f32_e32 v35, v38, v127
	v_fmac_f32_e32 v24, 0xbf5db3d7, v23
	;; [unrolled: 1-line block ×3, first 2 shown]
	v_add_f32_e32 v23, v19, v28
	v_fmac_f32_e32 v19, -0.5, v25
	v_add_f32_e32 v14, v14, v27
	v_sub_f32_e32 v26, v33, v29
	v_mov_b32_e32 v25, v19
	v_add_f32_e32 v27, v31, v35
	v_fmac_f32_e32 v25, 0x3f5db3d7, v26
	v_fmac_f32_e32 v19, 0xbf5db3d7, v26
	v_add_f32_e32 v26, v4, v31
	v_fma_f32 v4, -0.5, v27, v4
	v_add_f32_e32 v22, v22, v29
	v_sub_f32_e32 v27, v34, v36
	v_mov_b32_e32 v28, v4
	v_add_f32_e32 v29, v34, v36
	v_fmac_f32_e32 v28, 0xbf5db3d7, v27
	v_fmac_f32_e32 v4, 0x3f5db3d7, v27
	v_add_f32_e32 v27, v5, v34
	v_fmac_f32_e32 v5, -0.5, v29
	v_add_f32_e32 v23, v23, v30
	v_sub_f32_e32 v30, v31, v35
	v_mov_b32_e32 v29, v5
	v_add_f32_e32 v15, v15, v32
	v_add_f32_e32 v26, v26, v35
	;; [unrolled: 1-line block ×3, first 2 shown]
	v_fmac_f32_e32 v29, 0x3f5db3d7, v30
	v_fmac_f32_e32 v5, 0xbf5db3d7, v30
	s_waitcnt lgkmcnt(0)
	; wave barrier
	ds_write2_b64 v185, v[6:7], v[8:9] offset1:9
	ds_write_b64 v185, v[0:1] offset:144
	ds_write2_b64 v186, v[10:11], v[12:13] offset1:9
	ds_write_b64 v186, v[2:3] offset:144
	ds_write2_b64 v187, v[14:15], v[20:21] offset1:9
	ds_write_b64 v187, v[16:17] offset:144
	ds_write2_b64 v188, v[22:23], v[24:25] offset1:9
	ds_write_b64 v188, v[18:19] offset:144
	ds_write2_b64 v189, v[26:27], v[28:29] offset1:9
	ds_write_b64 v189, v[4:5] offset:144
	s_waitcnt lgkmcnt(0)
	; wave barrier
	s_waitcnt lgkmcnt(0)
	ds_read2_b64 v[0:3], v173 offset1:63
	ds_read2_b64 v[4:7], v173 offset0:126 offset1:189
	ds_read2_b64 v[8:11], v117 offset0:122 offset1:185
	;; [unrolled: 1-line block ×6, first 2 shown]
	ds_read_b64 v[28:29], v173 offset:7056
	s_waitcnt lgkmcnt(6)
	v_mul_f32_e32 v30, v49, v7
	v_fmac_f32_e32 v30, v48, v6
	v_mul_f32_e32 v6, v49, v6
	v_fma_f32 v31, v48, v7, -v6
	s_waitcnt lgkmcnt(5)
	v_mul_f32_e32 v6, v51, v8
	v_fma_f32 v33, v50, v9, -v6
	s_waitcnt lgkmcnt(4)
	v_mul_f32_e32 v34, v53, v15
	v_mul_f32_e32 v6, v53, v14
	v_fmac_f32_e32 v34, v52, v14
	v_fma_f32 v14, v52, v15, -v6
	s_waitcnt lgkmcnt(3)
	v_mul_f32_e32 v15, v55, v17
	v_mul_f32_e32 v6, v55, v16
	;; [unrolled: 1-line block ×3, first 2 shown]
	v_fmac_f32_e32 v15, v54, v16
	v_fma_f32 v16, v54, v17, -v6
	s_waitcnt lgkmcnt(2)
	v_mul_f32_e32 v6, v41, v20
	v_fmac_f32_e32 v32, v50, v8
	v_fma_f32 v36, v40, v21, -v6
	v_mul_f32_e32 v6, v43, v10
	v_fma_f32 v37, v42, v11, -v6
	s_waitcnt lgkmcnt(1)
	v_mul_f32_e32 v38, v45, v25
	v_mul_f32_e32 v6, v45, v24
	v_add_f32_e32 v7, v32, v34
	v_mul_f32_e32 v35, v41, v21
	v_mul_f32_e32 v21, v43, v11
	v_fmac_f32_e32 v38, v44, v24
	v_fma_f32 v24, v44, v25, -v6
	v_mul_f32_e32 v6, v47, v18
	v_fma_f32 v8, -0.5, v7, v0
	v_fmac_f32_e32 v21, v42, v10
	v_fma_f32 v39, v46, v19, -v6
	v_mul_f32_e32 v6, v93, v22
	v_mul_f32_e32 v42, v95, v13
	v_sub_f32_e32 v7, v31, v16
	v_mov_b32_e32 v10, v8
	v_fma_f32 v41, v92, v23, -v6
	v_fmac_f32_e32 v42, v94, v12
	v_mul_f32_e32 v6, v95, v12
	v_fmac_f32_e32 v10, 0xbf737871, v7
	v_sub_f32_e32 v9, v33, v14
	v_sub_f32_e32 v11, v30, v32
	;; [unrolled: 1-line block ×3, first 2 shown]
	v_fmac_f32_e32 v8, 0x3f737871, v7
	v_fma_f32 v43, v94, v13, -v6
	v_mul_f32_e32 v6, v81, v26
	v_fmac_f32_e32 v10, 0xbf167918, v9
	v_add_f32_e32 v11, v11, v12
	v_fmac_f32_e32 v8, 0x3f167918, v9
	v_mul_f32_e32 v44, v81, v27
	v_fma_f32 v45, v80, v27, -v6
	s_waitcnt lgkmcnt(0)
	v_mul_f32_e32 v27, v83, v29
	v_mul_f32_e32 v6, v83, v28
	v_fmac_f32_e32 v10, 0x3e9e377a, v11
	v_fmac_f32_e32 v8, 0x3e9e377a, v11
	v_add_f32_e32 v11, v30, v15
	v_fmac_f32_e32 v27, v82, v28
	v_fma_f32 v28, v82, v29, -v6
	v_add_f32_e32 v6, v0, v30
	v_fma_f32 v0, -0.5, v11, v0
	v_mov_b32_e32 v12, v0
	v_add_f32_e32 v6, v6, v32
	v_fmac_f32_e32 v12, 0x3f737871, v9
	v_sub_f32_e32 v11, v32, v30
	v_sub_f32_e32 v13, v34, v15
	v_fmac_f32_e32 v0, 0xbf737871, v9
	v_add_f32_e32 v9, v33, v14
	v_add_f32_e32 v6, v6, v34
	v_fmac_f32_e32 v12, 0xbf167918, v7
	v_add_f32_e32 v11, v11, v13
	v_fmac_f32_e32 v0, 0x3f167918, v7
	v_fma_f32 v9, -0.5, v9, v1
	v_mul_f32_e32 v25, v47, v19
	v_add_f32_e32 v6, v6, v15
	v_fmac_f32_e32 v12, 0x3e9e377a, v11
	v_fmac_f32_e32 v0, 0x3e9e377a, v11
	v_sub_f32_e32 v15, v30, v15
	v_mov_b32_e32 v11, v9
	v_fmac_f32_e32 v25, v46, v18
	v_fmac_f32_e32 v11, 0x3f737871, v15
	v_sub_f32_e32 v17, v32, v34
	v_sub_f32_e32 v13, v31, v33
	;; [unrolled: 1-line block ×3, first 2 shown]
	v_fmac_f32_e32 v9, 0xbf737871, v15
	v_fmac_f32_e32 v11, 0x3f167918, v17
	v_add_f32_e32 v13, v13, v18
	v_fmac_f32_e32 v9, 0xbf167918, v17
	v_fmac_f32_e32 v11, 0x3e9e377a, v13
	;; [unrolled: 1-line block ×3, first 2 shown]
	v_add_f32_e32 v13, v31, v16
	v_add_f32_e32 v7, v1, v31
	v_fma_f32 v1, -0.5, v13, v1
	v_mov_b32_e32 v13, v1
	v_add_f32_e32 v7, v7, v33
	v_fmac_f32_e32 v13, 0xbf737871, v17
	v_fmac_f32_e32 v1, 0x3f737871, v17
	v_add_f32_e32 v7, v7, v14
	v_fmac_f32_e32 v13, 0x3f167918, v15
	v_fmac_f32_e32 v1, 0xbf167918, v15
	v_add_f32_e32 v15, v21, v38
	v_add_f32_e32 v7, v7, v16
	v_sub_f32_e32 v18, v33, v31
	v_sub_f32_e32 v14, v14, v16
	v_fma_f32 v16, -0.5, v15, v2
	v_fmac_f32_e32 v35, v40, v20
	v_add_f32_e32 v14, v18, v14
	v_sub_f32_e32 v15, v36, v39
	v_mov_b32_e32 v18, v16
	v_fmac_f32_e32 v18, 0xbf737871, v15
	v_sub_f32_e32 v17, v37, v24
	v_sub_f32_e32 v19, v35, v21
	v_sub_f32_e32 v20, v25, v38
	v_fmac_f32_e32 v16, 0x3f737871, v15
	v_fmac_f32_e32 v18, 0xbf167918, v17
	v_add_f32_e32 v19, v19, v20
	v_fmac_f32_e32 v16, 0x3f167918, v17
	v_fmac_f32_e32 v18, 0x3e9e377a, v19
	;; [unrolled: 1-line block ×3, first 2 shown]
	v_add_f32_e32 v19, v35, v25
	v_fmac_f32_e32 v13, 0x3e9e377a, v14
	v_fmac_f32_e32 v1, 0x3e9e377a, v14
	v_add_f32_e32 v14, v2, v35
	v_fma_f32 v2, -0.5, v19, v2
	v_mul_f32_e32 v40, v93, v23
	v_mov_b32_e32 v20, v2
	v_fmac_f32_e32 v40, v92, v22
	v_fmac_f32_e32 v20, 0x3f737871, v17
	v_sub_f32_e32 v19, v21, v35
	v_sub_f32_e32 v22, v38, v25
	v_fmac_f32_e32 v2, 0xbf737871, v17
	v_add_f32_e32 v17, v37, v24
	v_add_f32_e32 v14, v14, v21
	v_fmac_f32_e32 v20, 0xbf167918, v15
	v_add_f32_e32 v19, v19, v22
	v_fmac_f32_e32 v2, 0x3f167918, v15
	v_fma_f32 v17, -0.5, v17, v3
	v_add_f32_e32 v14, v14, v38
	v_fmac_f32_e32 v20, 0x3e9e377a, v19
	v_fmac_f32_e32 v2, 0x3e9e377a, v19
	v_sub_f32_e32 v22, v35, v25
	v_mov_b32_e32 v19, v17
	v_add_f32_e32 v14, v14, v25
	v_fmac_f32_e32 v19, 0x3f737871, v22
	v_sub_f32_e32 v23, v21, v38
	v_sub_f32_e32 v21, v36, v37
	;; [unrolled: 1-line block ×3, first 2 shown]
	v_fmac_f32_e32 v17, 0xbf737871, v22
	v_fmac_f32_e32 v19, 0x3f167918, v23
	v_add_f32_e32 v21, v21, v25
	v_fmac_f32_e32 v17, 0xbf167918, v23
	v_fmac_f32_e32 v19, 0x3e9e377a, v21
	;; [unrolled: 1-line block ×3, first 2 shown]
	v_add_f32_e32 v21, v36, v39
	v_add_f32_e32 v15, v3, v36
	v_fmac_f32_e32 v3, -0.5, v21
	v_fmac_f32_e32 v44, v80, v26
	v_add_f32_e32 v15, v15, v37
	v_mov_b32_e32 v21, v3
	v_add_f32_e32 v15, v15, v24
	v_fmac_f32_e32 v21, 0xbf737871, v23
	v_sub_f32_e32 v25, v37, v36
	v_sub_f32_e32 v24, v24, v39
	v_fmac_f32_e32 v3, 0x3f737871, v23
	v_add_f32_e32 v23, v42, v44
	v_fmac_f32_e32 v21, 0x3f167918, v22
	v_add_f32_e32 v24, v25, v24
	v_fmac_f32_e32 v3, 0xbf167918, v22
	v_fma_f32 v100, -0.5, v23, v4
	v_fmac_f32_e32 v21, 0x3e9e377a, v24
	v_fmac_f32_e32 v3, 0x3e9e377a, v24
	v_sub_f32_e32 v23, v41, v28
	v_mov_b32_e32 v24, v100
	v_fmac_f32_e32 v24, 0xbf737871, v23
	v_sub_f32_e32 v25, v43, v45
	v_sub_f32_e32 v26, v40, v42
	;; [unrolled: 1-line block ×3, first 2 shown]
	v_fmac_f32_e32 v100, 0x3f737871, v23
	v_fmac_f32_e32 v24, 0xbf167918, v25
	v_add_f32_e32 v26, v26, v29
	v_fmac_f32_e32 v100, 0x3f167918, v25
	v_fmac_f32_e32 v24, 0x3e9e377a, v26
	;; [unrolled: 1-line block ×3, first 2 shown]
	v_add_f32_e32 v26, v40, v27
	v_add_f32_e32 v22, v4, v40
	v_fma_f32 v4, -0.5, v26, v4
	v_mov_b32_e32 v26, v4
	v_fmac_f32_e32 v26, 0x3f737871, v25
	v_sub_f32_e32 v29, v42, v40
	v_sub_f32_e32 v30, v44, v27
	v_fmac_f32_e32 v4, 0xbf737871, v25
	v_add_f32_e32 v25, v43, v45
	v_add_f32_e32 v22, v22, v42
	v_fmac_f32_e32 v26, 0xbf167918, v23
	v_add_f32_e32 v29, v29, v30
	v_fmac_f32_e32 v4, 0x3f167918, v23
	v_fma_f32 v101, -0.5, v25, v5
	v_add_f32_e32 v22, v22, v44
	v_fmac_f32_e32 v26, 0x3e9e377a, v29
	v_fmac_f32_e32 v4, 0x3e9e377a, v29
	v_sub_f32_e32 v29, v40, v27
	v_mov_b32_e32 v25, v101
	v_add_f32_e32 v22, v22, v27
	v_fmac_f32_e32 v25, 0x3f737871, v29
	v_sub_f32_e32 v30, v42, v44
	v_sub_f32_e32 v27, v41, v43
	;; [unrolled: 1-line block ×3, first 2 shown]
	v_fmac_f32_e32 v101, 0xbf737871, v29
	v_fmac_f32_e32 v25, 0x3f167918, v30
	v_add_f32_e32 v27, v27, v31
	v_fmac_f32_e32 v101, 0xbf167918, v30
	v_add_f32_e32 v23, v5, v41
	v_fmac_f32_e32 v25, 0x3e9e377a, v27
	v_fmac_f32_e32 v101, 0x3e9e377a, v27
	v_add_f32_e32 v27, v41, v28
	v_add_f32_e32 v23, v23, v43
	v_fmac_f32_e32 v5, -0.5, v27
	v_add_f32_e32 v23, v23, v45
	v_mov_b32_e32 v27, v5
	v_add_f32_e32 v23, v23, v28
	v_fmac_f32_e32 v27, 0xbf737871, v30
	v_sub_f32_e32 v31, v43, v41
	v_sub_f32_e32 v28, v45, v28
	v_fmac_f32_e32 v5, 0x3f737871, v30
	v_fmac_f32_e32 v27, 0x3f167918, v29
	v_add_f32_e32 v28, v31, v28
	v_fmac_f32_e32 v5, 0xbf167918, v29
	v_add_f32_e32 v15, v15, v39
	v_fmac_f32_e32 v27, 0x3e9e377a, v28
	v_fmac_f32_e32 v5, 0x3e9e377a, v28
	s_waitcnt lgkmcnt(0)
	; wave barrier
	ds_write2_b64 v190, v[6:7], v[10:11] offset1:27
	ds_write2_b64 v190, v[12:13], v[0:1] offset0:54 offset1:81
	ds_write_b64 v190, v[8:9] offset:864
	ds_write2_b64 v191, v[14:15], v[18:19] offset1:27
	ds_write2_b64 v191, v[20:21], v[2:3] offset0:54 offset1:81
	ds_write_b64 v191, v[16:17] offset:864
	;; [unrolled: 3-line block ×3, first 2 shown]
	s_waitcnt lgkmcnt(0)
	; wave barrier
	s_waitcnt lgkmcnt(0)
	ds_read2_b64 v[0:3], v173 offset1:63
	ds_read2_b64 v[24:27], v173 offset0:135 offset1:198
	ds_read2_b64 v[20:23], v117 offset0:14 offset1:77
	ds_read2_b64 v[16:19], v117 offset0:149 offset1:212
	ds_read2_b64 v[12:15], v116 offset0:28 offset1:91
	ds_read2_b64 v[8:11], v116 offset0:163 offset1:226
	ds_read2_b64 v[4:7], v118 offset0:42 offset1:105
	s_and_saveexec_b64 s[4:5], s[0:1]
	s_cbranch_execz .LBB0_7
; %bb.6:
	v_add_u32_e32 v28, 0x200, v173
	ds_read2_b64 v[100:103], v28 offset0:62 offset1:197
	ds_read2_b64 v[104:107], v115 offset0:12 offset1:147
	;; [unrolled: 1-line block ×3, first 2 shown]
	ds_read_b64 v[112:113], v173 offset:7488
.LBB0_7:
	s_or_b64 exec, exec, s[4:5]
	s_waitcnt lgkmcnt(5)
	v_mul_f32_e32 v28, v73, v25
	v_fmac_f32_e32 v28, v72, v24
	v_mul_f32_e32 v24, v73, v24
	v_fma_f32 v24, v72, v25, -v24
	s_waitcnt lgkmcnt(4)
	v_mul_f32_e32 v25, v75, v21
	v_fmac_f32_e32 v25, v74, v20
	v_mul_f32_e32 v20, v75, v20
	v_fma_f32 v20, v74, v21, -v20
	;; [unrolled: 5-line block ×6, first 2 shown]
	v_mul_f32_e32 v29, v85, v27
	v_mul_f32_e32 v5, v85, v26
	v_fmac_f32_e32 v29, v84, v26
	v_fma_f32 v26, v84, v27, -v5
	v_mul_f32_e32 v27, v87, v23
	v_mul_f32_e32 v5, v87, v22
	v_fmac_f32_e32 v27, v86, v22
	v_fma_f32 v22, v86, v23, -v5
	v_mul_f32_e32 v23, v89, v19
	v_mul_f32_e32 v5, v89, v18
	v_fmac_f32_e32 v23, v88, v18
	v_fma_f32 v18, v88, v19, -v5
	v_mul_f32_e32 v5, v91, v14
	v_fma_f32 v30, v90, v15, -v5
	v_mul_f32_e32 v5, v77, v10
	v_fma_f32 v32, v76, v11, -v5
	v_mul_f32_e32 v5, v79, v6
	v_mul_f32_e32 v19, v91, v15
	;; [unrolled: 1-line block ×4, first 2 shown]
	v_fma_f32 v34, v78, v7, -v5
	v_add_f32_e32 v5, v28, v9
	v_sub_f32_e32 v7, v28, v9
	v_add_f32_e32 v9, v25, v13
	v_fmac_f32_e32 v19, v90, v14
	v_fmac_f32_e32 v31, v76, v10
	;; [unrolled: 1-line block ×3, first 2 shown]
	v_add_f32_e32 v6, v24, v4
	v_add_f32_e32 v10, v20, v8
	v_sub_f32_e32 v11, v25, v13
	v_add_f32_e32 v13, v21, v17
	v_add_f32_e32 v14, v16, v12
	v_sub_f32_e32 v12, v12, v16
	v_add_f32_e32 v16, v9, v5
	v_sub_f32_e32 v8, v20, v8
	v_sub_f32_e32 v15, v17, v21
	v_add_f32_e32 v17, v10, v6
	v_sub_f32_e32 v20, v9, v5
	v_sub_f32_e32 v5, v5, v13
	;; [unrolled: 1-line block ×3, first 2 shown]
	v_add_f32_e32 v13, v13, v16
	v_sub_f32_e32 v21, v10, v6
	v_sub_f32_e32 v6, v6, v14
	;; [unrolled: 1-line block ×3, first 2 shown]
	v_add_f32_e32 v14, v14, v17
	v_add_f32_e32 v0, v0, v13
	v_sub_f32_e32 v4, v24, v4
	v_add_f32_e32 v24, v15, v11
	v_sub_f32_e32 v28, v15, v11
	v_sub_f32_e32 v11, v11, v7
	v_add_f32_e32 v1, v1, v14
	v_mov_b32_e32 v36, v0
	v_add_f32_e32 v25, v12, v8
	v_sub_f32_e32 v35, v12, v8
	v_sub_f32_e32 v15, v7, v15
	v_sub_f32_e32 v8, v8, v4
	v_add_f32_e32 v7, v24, v7
	v_mul_f32_e32 v5, 0x3f4a47b2, v5
	v_mul_f32_e32 v6, 0x3f4a47b2, v6
	;; [unrolled: 1-line block ×5, first 2 shown]
	s_mov_b32 s6, 0xbf5ff5aa
	v_mul_f32_e32 v28, 0xbf5ff5aa, v11
	v_fmac_f32_e32 v36, 0xbf955555, v13
	v_mov_b32_e32 v13, v1
	s_mov_b32 s7, 0x3f3bfb3b
	s_mov_b32 s12, 0xbf3bfb3b
	;; [unrolled: 1-line block ×3, first 2 shown]
	v_sub_f32_e32 v12, v4, v12
	v_add_f32_e32 v4, v25, v4
	v_mul_f32_e32 v25, 0x3f08b237, v35
	v_mul_f32_e32 v35, 0xbf5ff5aa, v8
	v_fmac_f32_e32 v13, 0xbf955555, v14
	v_fma_f32 v14, v20, s7, -v16
	v_fma_f32 v16, v21, s7, -v17
	v_fma_f32 v17, v20, s12, -v5
	v_fmac_f32_e32 v5, 0x3d64c772, v9
	v_fma_f32 v9, v21, s12, -v6
	v_fmac_f32_e32 v6, 0x3d64c772, v10
	v_fma_f32 v11, v11, s6, -v24
	;; [unrolled: 2-line block ×3, first 2 shown]
	v_fma_f32 v10, v8, s6, -v25
	v_fmac_f32_e32 v25, 0xbeae86e6, v12
	v_fma_f32 v12, v12, s13, -v35
	v_add_f32_e32 v21, v6, v13
	v_add_f32_e32 v16, v16, v13
	;; [unrolled: 1-line block ×3, first 2 shown]
	v_fmac_f32_e32 v24, 0xbee1c552, v7
	v_fmac_f32_e32 v11, 0xbee1c552, v7
	;; [unrolled: 1-line block ×3, first 2 shown]
	v_add_f32_e32 v20, v5, v36
	v_add_f32_e32 v14, v14, v36
	;; [unrolled: 1-line block ×3, first 2 shown]
	v_fmac_f32_e32 v25, 0xbee1c552, v4
	v_fmac_f32_e32 v10, 0xbee1c552, v4
	;; [unrolled: 1-line block ×3, first 2 shown]
	v_sub_f32_e32 v5, v21, v24
	v_sub_f32_e32 v7, v13, v15
	v_add_f32_e32 v9, v11, v16
	v_sub_f32_e32 v11, v16, v11
	v_add_f32_e32 v13, v15, v13
	v_add_f32_e32 v15, v24, v21
	;; [unrolled: 1-line block ×6, first 2 shown]
	v_sub_f32_e32 v8, v14, v10
	v_add_f32_e32 v10, v10, v14
	v_sub_f32_e32 v12, v17, v12
	v_sub_f32_e32 v14, v20, v25
	v_add_f32_e32 v17, v26, v34
	v_sub_f32_e32 v21, v26, v34
	v_add_f32_e32 v25, v22, v32
	;; [unrolled: 2-line block ×5, first 2 shown]
	v_add_f32_e32 v29, v25, v17
	v_add_f32_e32 v23, v27, v23
	v_sub_f32_e32 v22, v22, v32
	v_sub_f32_e32 v18, v30, v18
	;; [unrolled: 1-line block ×5, first 2 shown]
	v_add_f32_e32 v27, v28, v29
	v_add_f32_e32 v2, v2, v23
	v_sub_f32_e32 v31, v25, v17
	v_sub_f32_e32 v17, v17, v28
	;; [unrolled: 1-line block ×3, first 2 shown]
	v_add_f32_e32 v32, v19, v26
	v_add_f32_e32 v33, v18, v22
	v_sub_f32_e32 v34, v19, v26
	v_sub_f32_e32 v35, v18, v22
	;; [unrolled: 1-line block ×4, first 2 shown]
	v_add_f32_e32 v3, v3, v27
	v_mov_b32_e32 v36, v2
	v_sub_f32_e32 v19, v20, v19
	v_sub_f32_e32 v18, v21, v18
	v_add_f32_e32 v20, v32, v20
	v_add_f32_e32 v21, v33, v21
	v_mul_f32_e32 v16, 0x3f4a47b2, v16
	v_mul_f32_e32 v17, 0x3f4a47b2, v17
	;; [unrolled: 1-line block ×8, first 2 shown]
	v_fmac_f32_e32 v36, 0xbf955555, v23
	v_mov_b32_e32 v23, v3
	v_fmac_f32_e32 v23, 0xbf955555, v27
	v_fma_f32 v27, v30, s7, -v28
	v_fma_f32 v28, v31, s7, -v29
	;; [unrolled: 1-line block ×3, first 2 shown]
	v_fmac_f32_e32 v16, 0x3d64c772, v24
	v_fma_f32 v24, v31, s12, -v17
	v_fmac_f32_e32 v17, 0x3d64c772, v25
	v_fma_f32 v25, v26, s6, -v32
	;; [unrolled: 2-line block ×4, first 2 shown]
	v_fma_f32 v30, v18, s13, -v35
	v_add_f32_e32 v31, v16, v36
	v_add_f32_e32 v34, v17, v23
	;; [unrolled: 1-line block ×6, first 2 shown]
	v_fmac_f32_e32 v32, 0xbee1c552, v20
	v_fmac_f32_e32 v33, 0xbee1c552, v21
	;; [unrolled: 1-line block ×6, first 2 shown]
	v_add_f32_e32 v16, v33, v31
	v_sub_f32_e32 v17, v34, v32
	v_add_f32_e32 v18, v30, v29
	v_sub_f32_e32 v19, v35, v26
	v_sub_f32_e32 v20, v27, v22
	v_add_f32_e32 v21, v25, v28
	v_add_f32_e32 v22, v22, v27
	v_sub_f32_e32 v23, v28, v25
	v_sub_f32_e32 v24, v29, v30
	v_add_f32_e32 v25, v26, v35
	v_sub_f32_e32 v26, v31, v33
	v_add_f32_e32 v27, v32, v34
	ds_write_b64 v173, v[4:5] offset:1080
	ds_write_b64 v173, v[6:7] offset:2160
	;; [unrolled: 1-line block ×6, first 2 shown]
	ds_write2_b64 v173, v[0:1], v[2:3] offset1:63
	ds_write_b64 v173, v[16:17] offset:1584
	ds_write_b64 v173, v[18:19] offset:2664
	ds_write_b64 v173, v[20:21] offset:3744
	ds_write_b64 v173, v[22:23] offset:4824
	ds_write_b64 v173, v[24:25] offset:5904
	ds_write_b64 v173, v[26:27] offset:6984
	s_and_saveexec_b64 s[4:5], s[0:1]
	s_cbranch_execz .LBB0_9
; %bb.8:
	v_mul_f32_e32 v0, v57, v103
	v_mul_f32_e32 v2, v67, v113
	;; [unrolled: 1-line block ×6, first 2 shown]
	v_fmac_f32_e32 v0, v56, v102
	v_fmac_f32_e32 v2, v66, v112
	;; [unrolled: 1-line block ×6, first 2 shown]
	v_sub_f32_e32 v4, v0, v2
	v_sub_f32_e32 v1, v5, v6
	v_sub_f32_e32 v10, v8, v9
	v_sub_f32_e32 v7, v4, v1
	v_sub_f32_e32 v3, v1, v10
	v_add_f32_e32 v1, v1, v10
	v_add_f32_e32 v13, v1, v4
	v_mul_f32_e32 v1, v67, v112
	v_fma_f32 v14, v66, v113, -v1
	v_mul_f32_e32 v1, v57, v102
	v_fma_f32 v15, v56, v103, -v1
	;; [unrolled: 2-line block ×4, first 2 shown]
	v_add_f32_e32 v16, v14, v15
	v_add_f32_e32 v1, v17, v18
	v_mul_f32_e32 v11, 0x3f08b237, v3
	v_sub_f32_e32 v3, v16, v1
	v_mul_f32_e32 v19, 0x3f4a47b2, v3
	v_mul_f32_e32 v3, v65, v110
	v_add_f32_e32 v26, v2, v0
	v_add_f32_e32 v0, v6, v5
	v_fma_f32 v20, v64, v111, -v3
	v_mul_f32_e32 v3, v59, v104
	v_sub_f32_e32 v2, v26, v0
	v_fma_f32 v21, v58, v105, -v3
	v_mul_f32_e32 v6, 0x3f4a47b2, v2
	v_add_f32_e32 v8, v9, v8
	v_add_f32_e32 v22, v20, v21
	v_sub_f32_e32 v2, v0, v8
	v_mov_b32_e32 v5, v6
	v_sub_f32_e32 v3, v1, v22
	v_mov_b32_e32 v24, v19
	v_mul_f32_e32 v9, 0x3d64c772, v2
	v_fmac_f32_e32 v5, 0x3d64c772, v2
	v_add_f32_e32 v2, v8, v26
	v_mul_f32_e32 v23, 0x3d64c772, v3
	v_fmac_f32_e32 v24, 0x3d64c772, v3
	v_add_f32_e32 v3, v22, v16
	v_add_f32_e32 v2, v0, v2
	;; [unrolled: 1-line block ×4, first 2 shown]
	v_sub_f32_e32 v10, v10, v4
	v_mov_b32_e32 v12, v11
	v_add_f32_e32 v1, v101, v3
	v_mov_b32_e32 v27, v0
	v_mul_f32_e32 v4, 0xbf5ff5aa, v10
	v_fmac_f32_e32 v12, 0xbeae86e6, v7
	v_mov_b32_e32 v25, v1
	v_fmac_f32_e32 v27, 0xbf955555, v2
	v_sub_f32_e32 v2, v18, v17
	v_sub_f32_e32 v17, v21, v20
	v_fma_f32 v29, v7, s13, -v4
	v_sub_f32_e32 v7, v22, v16
	v_fmac_f32_e32 v25, 0xbf955555, v3
	v_add_f32_e32 v28, v5, v27
	v_sub_f32_e32 v14, v15, v14
	v_sub_f32_e32 v5, v2, v17
	v_fma_f32 v4, v7, s12, -v19
	v_sub_f32_e32 v8, v8, v26
	v_mul_f32_e32 v18, 0x3f08b237, v5
	v_add_f32_e32 v16, v4, v25
	v_fma_f32 v4, v8, s12, -v6
	v_sub_f32_e32 v6, v17, v14
	v_sub_f32_e32 v15, v14, v2
	v_mov_b32_e32 v20, v18
	v_add_f32_e32 v2, v2, v17
	v_add_f32_e32 v19, v4, v27
	v_mul_f32_e32 v4, 0xbf5ff5aa, v6
	v_fmac_f32_e32 v20, 0xbeae86e6, v15
	v_add_f32_e32 v21, v2, v14
	v_fma_f32 v14, v15, s13, -v4
	v_fma_f32 v7, v7, s7, -v23
	;; [unrolled: 1-line block ×3, first 2 shown]
	v_fmac_f32_e32 v12, 0xbee1c552, v13
	v_add_f32_e32 v24, v24, v25
	v_fmac_f32_e32 v20, 0xbee1c552, v21
	v_fmac_f32_e32 v14, 0xbee1c552, v21
	v_add_f32_e32 v15, v7, v25
	v_fmac_f32_e32 v10, 0xbee1c552, v13
	v_fma_f32 v11, v6, s6, -v18
	v_fma_f32 v6, v8, s7, -v9
	v_add_f32_e32 v3, v12, v24
	v_fmac_f32_e32 v29, 0xbee1c552, v13
	v_sub_f32_e32 v4, v19, v14
	v_sub_f32_e32 v7, v15, v10
	v_fmac_f32_e32 v11, 0xbee1c552, v21
	v_add_f32_e32 v8, v6, v27
	v_add_f32_e32 v9, v10, v15
	v_add_f32_e32 v10, v14, v19
	v_sub_f32_e32 v13, v24, v12
	v_add_f32_e32 v12, v20, v28
	v_add_u32_e32 v14, 0x200, v173
	v_add_f32_e32 v6, v11, v8
	v_sub_f32_e32 v8, v8, v11
	v_sub_f32_e32 v11, v16, v29
	ds_write2_b64 v14, v[0:1], v[12:13] offset0:62 offset1:197
	v_add_u32_e32 v0, 0xc00, v173
	v_add_f32_e32 v5, v29, v16
	ds_write2_b64 v0, v[10:11], v[8:9] offset0:12 offset1:147
	v_add_u32_e32 v0, 0x1400, v173
	v_sub_f32_e32 v2, v28, v20
	ds_write2_b64 v0, v[6:7], v[4:5] offset0:26 offset1:161
	ds_write_b64 v173, v[2:3] offset:7488
.LBB0_9:
	s_or_b64 exec, exec, s[4:5]
	s_waitcnt lgkmcnt(0)
	; wave barrier
	s_waitcnt lgkmcnt(0)
	ds_read2_b64 v[0:3], v173 offset1:63
	v_mad_u64_u32 v[8:9], s[0:1], s10, v158, 0
	s_mov_b32 s0, 0xbc011567
	s_mov_b32 s1, 0x3f51566a
	s_waitcnt lgkmcnt(0)
	v_mul_f32_e32 v5, v170, v1
	v_fmac_f32_e32 v5, v169, v0
	v_cvt_f64_f32_e32 v[5:6], v5
	v_mul_f32_e32 v0, v170, v0
	v_fma_f32 v0, v169, v1, -v0
	v_cvt_f64_f32_e32 v[0:1], v0
	v_mul_f64 v[5:6], v[5:6], s[0:1]
	v_mov_b32_e32 v4, v9
	v_mov_b32_e32 v14, s3
	v_mul_f64 v[0:1], v[0:1], s[0:1]
	s_mul_hi_u32 s3, s8, 0x9d8
	v_mad_u64_u32 v[9:10], s[4:5], s11, v158, v[4:5]
	v_mad_u64_u32 v[10:11], s[4:5], s8, v174, 0
	v_cvt_f32_f64_e32 v13, v[0:1]
	v_cvt_f32_f64_e32 v12, v[5:6]
	v_mov_b32_e32 v0, v11
	v_mad_u64_u32 v[0:1], s[4:5], s9, v174, v[0:1]
	v_add_u32_e32 v1, 0x400, v173
	ds_read2_b64 v[4:7], v1 offset0:124 offset1:187
	v_mov_b32_e32 v11, v0
	v_lshlrev_b64 v[0:1], 3, v[8:9]
	s_mul_hi_u32 s5, s8, 0xffffee48
	v_add_co_u32_e32 v16, vcc, s2, v0
	s_waitcnt lgkmcnt(0)
	v_mul_f32_e32 v8, v168, v7
	v_fmac_f32_e32 v8, v167, v6
	v_mul_f32_e32 v6, v168, v6
	v_fma_f32 v6, v167, v7, -v6
	v_cvt_f64_f32_e32 v[6:7], v6
	v_cvt_f64_f32_e32 v[8:9], v8
	v_addc_co_u32_e32 v17, vcc, v14, v1, vcc
	v_mul_f64 v[14:15], v[6:7], s[0:1]
	v_add_u32_e32 v6, 0x1000, v173
	v_lshlrev_b64 v[0:1], 3, v[10:11]
	v_mul_f64 v[10:11], v[8:9], s[0:1]
	ds_read2_b64 v[6:9], v6 offset0:118 offset1:181
	v_add_co_u32_e32 v0, vcc, v16, v0
	v_addc_co_u32_e32 v1, vcc, v17, v1, vcc
	global_store_dwordx2 v[0:1], v[12:13], off
	s_waitcnt lgkmcnt(0)
	v_mul_f32_e32 v12, v164, v7
	v_fmac_f32_e32 v12, v163, v6
	v_cvt_f64_f32_e32 v[12:13], v12
	v_mul_f32_e32 v6, v164, v6
	v_fma_f32 v6, v163, v7, -v6
	v_cvt_f64_f32_e32 v[6:7], v6
	v_mul_f64 v[12:13], v[12:13], s[0:1]
	v_cvt_f32_f64_e32 v10, v[10:11]
	v_cvt_f32_f64_e32 v11, v[14:15]
	s_mul_i32 s2, s9, 0x9d8
	s_add_i32 s2, s3, s2
	s_mul_i32 s3, s8, 0x9d8
	v_mov_b32_e32 v14, s2
	v_add_co_u32_e32 v0, vcc, s3, v0
	v_addc_co_u32_e32 v1, vcc, v1, v14, vcc
	v_mul_f64 v[6:7], v[6:7], s[0:1]
	global_store_dwordx2 v[0:1], v[10:11], off
	v_mul_f32_e32 v11, v166, v3
	v_fmac_f32_e32 v11, v165, v2
	v_mul_f32_e32 v2, v166, v2
	v_fma_f32 v2, v165, v3, -v2
	v_cvt_f32_f64_e32 v10, v[12:13]
	v_cvt_f64_f32_e32 v[12:13], v11
	v_cvt_f64_f32_e32 v[2:3], v2
	v_mov_b32_e32 v15, s2
	v_add_co_u32_e32 v14, vcc, s3, v0
	v_add_u32_e32 v0, 0x800, v173
	v_cvt_f32_f64_e32 v11, v[6:7]
	v_mul_f64 v[6:7], v[12:13], s[0:1]
	v_mul_f64 v[12:13], v[2:3], s[0:1]
	v_addc_co_u32_e32 v15, vcc, v1, v15, vcc
	ds_read2_b64 v[0:3], v0 offset0:122 offset1:185
	global_store_dwordx2 v[14:15], v[10:11], off
	s_mul_i32 s4, s9, 0xffffee48
	s_sub_i32 s5, s5, s8
	v_cvt_f32_f64_e32 v6, v[6:7]
	s_waitcnt lgkmcnt(0)
	v_mul_f32_e32 v10, v162, v1
	v_fmac_f32_e32 v10, v161, v0
	v_mul_f32_e32 v0, v162, v0
	v_fma_f32 v0, v161, v1, -v0
	v_cvt_f64_f32_e32 v[10:11], v10
	v_cvt_f64_f32_e32 v[0:1], v0
	v_cvt_f32_f64_e32 v7, v[12:13]
	s_add_i32 s5, s5, s4
	v_mul_f64 v[10:11], v[10:11], s[0:1]
	v_mul_f64 v[0:1], v[0:1], s[0:1]
	s_mul_i32 s4, s8, 0xffffee48
	v_mov_b32_e32 v13, s5
	v_add_co_u32_e32 v12, vcc, s4, v14
	v_addc_co_u32_e32 v13, vcc, v15, v13, vcc
	global_store_dwordx2 v[12:13], v[6:7], off
	v_cvt_f32_f64_e32 v10, v[10:11]
	v_cvt_f32_f64_e32 v11, v[0:1]
	v_mul_f32_e32 v0, v160, v9
	v_mul_f32_e32 v6, v160, v8
	v_fmac_f32_e32 v0, v159, v8
	v_fma_f32 v6, v159, v9, -v6
	v_cvt_f64_f32_e32 v[0:1], v0
	v_cvt_f64_f32_e32 v[14:15], v6
	ds_read2_b64 v[6:9], v173 offset0:126 offset1:189
	v_mov_b32_e32 v16, s2
	v_add_co_u32_e32 v12, vcc, s3, v12
	v_addc_co_u32_e32 v13, vcc, v13, v16, vcc
	global_store_dwordx2 v[12:13], v[10:11], off
	v_mul_f64 v[0:1], v[0:1], s[0:1]
	v_mul_f64 v[10:11], v[14:15], s[0:1]
	s_waitcnt lgkmcnt(0)
	v_mul_f32_e32 v14, v157, v7
	v_fmac_f32_e32 v14, v156, v6
	v_mul_f32_e32 v6, v157, v6
	v_fma_f32 v6, v156, v7, -v6
	v_cvt_f64_f32_e32 v[14:15], v14
	v_cvt_f64_f32_e32 v[6:7], v6
	v_cvt_f32_f64_e32 v0, v[0:1]
	v_cvt_f32_f64_e32 v1, v[10:11]
	v_mul_f64 v[10:11], v[14:15], s[0:1]
	v_mul_f64 v[6:7], v[6:7], s[0:1]
	v_mov_b32_e32 v14, s2
	v_add_co_u32_e32 v12, vcc, s3, v12
	v_addc_co_u32_e32 v13, vcc, v13, v14, vcc
	global_store_dwordx2 v[12:13], v[0:1], off
	v_mul_f32_e32 v0, v155, v3
	v_fmac_f32_e32 v0, v154, v2
	v_cvt_f32_f64_e32 v10, v[10:11]
	v_cvt_f32_f64_e32 v11, v[6:7]
	v_cvt_f64_f32_e32 v[6:7], v0
	v_mul_f32_e32 v0, v155, v2
	v_fma_f32 v0, v154, v3, -v0
	v_cvt_f64_f32_e32 v[14:15], v0
	v_add_u32_e32 v0, 0x1400, v173
	ds_read2_b64 v[0:3], v0 offset0:116 offset1:179
	v_mov_b32_e32 v16, s5
	v_add_co_u32_e32 v12, vcc, s4, v12
	v_addc_co_u32_e32 v13, vcc, v13, v16, vcc
	global_store_dwordx2 v[12:13], v[10:11], off
	v_mul_f64 v[6:7], v[6:7], s[0:1]
	v_mul_f64 v[10:11], v[14:15], s[0:1]
	s_waitcnt lgkmcnt(0)
	v_mul_f32_e32 v14, v153, v1
	v_fmac_f32_e32 v14, v152, v0
	v_mul_f32_e32 v0, v153, v0
	v_fma_f32 v0, v152, v1, -v0
	v_cvt_f64_f32_e32 v[14:15], v14
	v_cvt_f64_f32_e32 v[0:1], v0
	v_cvt_f32_f64_e32 v6, v[6:7]
	v_cvt_f32_f64_e32 v7, v[10:11]
	v_mul_f64 v[10:11], v[14:15], s[0:1]
	v_mul_f64 v[0:1], v[0:1], s[0:1]
	v_mov_b32_e32 v14, s2
	v_add_co_u32_e32 v12, vcc, s3, v12
	v_addc_co_u32_e32 v13, vcc, v13, v14, vcc
	global_store_dwordx2 v[12:13], v[6:7], off
	v_mul_f32_e32 v6, v151, v8
	v_fma_f32 v6, v150, v9, -v6
	v_cvt_f32_f64_e32 v10, v[10:11]
	v_cvt_f32_f64_e32 v11, v[0:1]
	v_mul_f32_e32 v0, v151, v9
	v_cvt_f64_f32_e32 v[14:15], v6
	v_add_u32_e32 v6, 0xc00, v173
	v_fmac_f32_e32 v0, v150, v8
	ds_read2_b64 v[6:9], v6 offset0:120 offset1:183
	v_mov_b32_e32 v16, s2
	v_cvt_f64_f32_e32 v[0:1], v0
	v_add_co_u32_e32 v12, vcc, s3, v12
	v_addc_co_u32_e32 v13, vcc, v13, v16, vcc
	global_store_dwordx2 v[12:13], v[10:11], off
	v_mul_f64 v[10:11], v[14:15], s[0:1]
	s_waitcnt lgkmcnt(0)
	v_mul_f32_e32 v14, v149, v7
	v_fmac_f32_e32 v14, v148, v6
	v_mul_f32_e32 v6, v149, v6
	v_mul_f64 v[0:1], v[0:1], s[0:1]
	v_fma_f32 v6, v148, v7, -v6
	v_cvt_f64_f32_e32 v[6:7], v6
	v_cvt_f64_f32_e32 v[14:15], v14
	v_add_co_u32_e32 v12, vcc, s4, v12
	v_mul_f64 v[6:7], v[6:7], s[0:1]
	v_cvt_f32_f64_e32 v0, v[0:1]
	v_cvt_f32_f64_e32 v1, v[10:11]
	v_mul_f64 v[10:11], v[14:15], s[0:1]
	v_mov_b32_e32 v14, s5
	v_addc_co_u32_e32 v13, vcc, v13, v14, vcc
	global_store_dwordx2 v[12:13], v[0:1], off
	v_cvt_f32_f64_e32 v1, v[6:7]
	v_mul_f32_e32 v6, v147, v3
	v_fmac_f32_e32 v6, v146, v2
	v_mul_f32_e32 v2, v147, v2
	v_fma_f32 v2, v146, v3, -v2
	v_cvt_f32_f64_e32 v0, v[10:11]
	v_cvt_f64_f32_e32 v[6:7], v6
	v_cvt_f64_f32_e32 v[2:3], v2
	v_mov_b32_e32 v11, s2
	v_add_co_u32_e32 v10, vcc, s3, v12
	v_addc_co_u32_e32 v11, vcc, v13, v11, vcc
	global_store_dwordx2 v[10:11], v[0:1], off
	v_mul_f64 v[0:1], v[6:7], s[0:1]
	v_mul_f64 v[2:3], v[2:3], s[0:1]
	v_mul_f32_e32 v6, v145, v5
	v_fmac_f32_e32 v6, v144, v4
	v_mul_f32_e32 v4, v145, v4
	v_fma_f32 v4, v144, v5, -v4
	v_cvt_f64_f32_e32 v[6:7], v6
	v_cvt_f64_f32_e32 v[4:5], v4
	v_cvt_f32_f64_e32 v0, v[0:1]
	v_cvt_f32_f64_e32 v1, v[2:3]
	v_mul_f64 v[2:3], v[6:7], s[0:1]
	v_mul_f64 v[4:5], v[4:5], s[0:1]
	v_mov_b32_e32 v7, s2
	v_add_co_u32_e32 v6, vcc, s3, v10
	v_addc_co_u32_e32 v7, vcc, v11, v7, vcc
	global_store_dwordx2 v[6:7], v[0:1], off
	v_cvt_f32_f64_e32 v0, v[2:3]
	v_cvt_f32_f64_e32 v1, v[4:5]
	v_mul_f32_e32 v2, v143, v9
	v_mul_f32_e32 v4, v143, v8
	v_fmac_f32_e32 v2, v142, v8
	v_fma_f32 v4, v142, v9, -v4
	v_cvt_f64_f32_e32 v[2:3], v2
	v_cvt_f64_f32_e32 v[4:5], v4
	ds_read_b64 v[8:9], v173 offset:7056
	v_mov_b32_e32 v10, s5
	v_add_co_u32_e32 v6, vcc, s4, v6
	v_addc_co_u32_e32 v7, vcc, v7, v10, vcc
	global_store_dwordx2 v[6:7], v[0:1], off
	v_mul_f64 v[0:1], v[2:3], s[0:1]
	v_mul_f64 v[2:3], v[4:5], s[0:1]
	s_waitcnt lgkmcnt(0)
	v_mul_f32_e32 v4, v141, v9
	v_fmac_f32_e32 v4, v140, v8
	v_mul_f32_e32 v8, v141, v8
	v_fma_f32 v8, v140, v9, -v8
	v_cvt_f64_f32_e32 v[4:5], v4
	v_cvt_f64_f32_e32 v[8:9], v8
	v_cvt_f32_f64_e32 v0, v[0:1]
	v_cvt_f32_f64_e32 v1, v[2:3]
	v_mul_f64 v[2:3], v[4:5], s[0:1]
	v_mul_f64 v[4:5], v[8:9], s[0:1]
	v_mov_b32_e32 v8, s2
	v_add_co_u32_e32 v6, vcc, s3, v6
	v_addc_co_u32_e32 v7, vcc, v7, v8, vcc
	global_store_dwordx2 v[6:7], v[0:1], off
	v_cvt_f32_f64_e32 v0, v[2:3]
	v_cvt_f32_f64_e32 v1, v[4:5]
	v_mov_b32_e32 v3, s2
	v_add_co_u32_e32 v2, vcc, s3, v6
	v_addc_co_u32_e32 v3, vcc, v7, v3, vcc
	global_store_dwordx2 v[2:3], v[0:1], off
.LBB0_10:
	s_endpgm
	.section	.rodata,"a",@progbits
	.p2align	6, 0x0
	.amdhsa_kernel bluestein_single_fwd_len945_dim1_sp_op_CI_CI
		.amdhsa_group_segment_fixed_size 7560
		.amdhsa_private_segment_fixed_size 0
		.amdhsa_kernarg_size 104
		.amdhsa_user_sgpr_count 6
		.amdhsa_user_sgpr_private_segment_buffer 1
		.amdhsa_user_sgpr_dispatch_ptr 0
		.amdhsa_user_sgpr_queue_ptr 0
		.amdhsa_user_sgpr_kernarg_segment_ptr 1
		.amdhsa_user_sgpr_dispatch_id 0
		.amdhsa_user_sgpr_flat_scratch_init 0
		.amdhsa_user_sgpr_private_segment_size 0
		.amdhsa_uses_dynamic_stack 0
		.amdhsa_system_sgpr_private_segment_wavefront_offset 0
		.amdhsa_system_sgpr_workgroup_id_x 1
		.amdhsa_system_sgpr_workgroup_id_y 0
		.amdhsa_system_sgpr_workgroup_id_z 0
		.amdhsa_system_sgpr_workgroup_info 0
		.amdhsa_system_vgpr_workitem_id 0
		.amdhsa_next_free_vgpr 229
		.amdhsa_next_free_sgpr 20
		.amdhsa_reserve_vcc 1
		.amdhsa_reserve_flat_scratch 0
		.amdhsa_float_round_mode_32 0
		.amdhsa_float_round_mode_16_64 0
		.amdhsa_float_denorm_mode_32 3
		.amdhsa_float_denorm_mode_16_64 3
		.amdhsa_dx10_clamp 1
		.amdhsa_ieee_mode 1
		.amdhsa_fp16_overflow 0
		.amdhsa_exception_fp_ieee_invalid_op 0
		.amdhsa_exception_fp_denorm_src 0
		.amdhsa_exception_fp_ieee_div_zero 0
		.amdhsa_exception_fp_ieee_overflow 0
		.amdhsa_exception_fp_ieee_underflow 0
		.amdhsa_exception_fp_ieee_inexact 0
		.amdhsa_exception_int_div_zero 0
	.end_amdhsa_kernel
	.text
.Lfunc_end0:
	.size	bluestein_single_fwd_len945_dim1_sp_op_CI_CI, .Lfunc_end0-bluestein_single_fwd_len945_dim1_sp_op_CI_CI
                                        ; -- End function
	.section	.AMDGPU.csdata,"",@progbits
; Kernel info:
; codeLenInByte = 15624
; NumSgprs: 24
; NumVgprs: 229
; ScratchSize: 0
; MemoryBound: 0
; FloatMode: 240
; IeeeMode: 1
; LDSByteSize: 7560 bytes/workgroup (compile time only)
; SGPRBlocks: 2
; VGPRBlocks: 57
; NumSGPRsForWavesPerEU: 24
; NumVGPRsForWavesPerEU: 229
; Occupancy: 1
; WaveLimiterHint : 1
; COMPUTE_PGM_RSRC2:SCRATCH_EN: 0
; COMPUTE_PGM_RSRC2:USER_SGPR: 6
; COMPUTE_PGM_RSRC2:TRAP_HANDLER: 0
; COMPUTE_PGM_RSRC2:TGID_X_EN: 1
; COMPUTE_PGM_RSRC2:TGID_Y_EN: 0
; COMPUTE_PGM_RSRC2:TGID_Z_EN: 0
; COMPUTE_PGM_RSRC2:TIDIG_COMP_CNT: 0
	.type	__hip_cuid_83eb9800ac0e1e57,@object ; @__hip_cuid_83eb9800ac0e1e57
	.section	.bss,"aw",@nobits
	.globl	__hip_cuid_83eb9800ac0e1e57
__hip_cuid_83eb9800ac0e1e57:
	.byte	0                               ; 0x0
	.size	__hip_cuid_83eb9800ac0e1e57, 1

	.ident	"AMD clang version 19.0.0git (https://github.com/RadeonOpenCompute/llvm-project roc-6.4.0 25133 c7fe45cf4b819c5991fe208aaa96edf142730f1d)"
	.section	".note.GNU-stack","",@progbits
	.addrsig
	.addrsig_sym __hip_cuid_83eb9800ac0e1e57
	.amdgpu_metadata
---
amdhsa.kernels:
  - .args:
      - .actual_access:  read_only
        .address_space:  global
        .offset:         0
        .size:           8
        .value_kind:     global_buffer
      - .actual_access:  read_only
        .address_space:  global
        .offset:         8
        .size:           8
        .value_kind:     global_buffer
      - .actual_access:  read_only
        .address_space:  global
        .offset:         16
        .size:           8
        .value_kind:     global_buffer
      - .actual_access:  read_only
        .address_space:  global
        .offset:         24
        .size:           8
        .value_kind:     global_buffer
      - .actual_access:  read_only
        .address_space:  global
        .offset:         32
        .size:           8
        .value_kind:     global_buffer
      - .offset:         40
        .size:           8
        .value_kind:     by_value
      - .address_space:  global
        .offset:         48
        .size:           8
        .value_kind:     global_buffer
      - .address_space:  global
        .offset:         56
        .size:           8
        .value_kind:     global_buffer
      - .address_space:  global
        .offset:         64
        .size:           8
        .value_kind:     global_buffer
      - .address_space:  global
        .offset:         72
        .size:           8
        .value_kind:     global_buffer
      - .offset:         80
        .size:           4
        .value_kind:     by_value
      - .address_space:  global
        .offset:         88
        .size:           8
        .value_kind:     global_buffer
      - .address_space:  global
        .offset:         96
        .size:           8
        .value_kind:     global_buffer
    .group_segment_fixed_size: 7560
    .kernarg_segment_align: 8
    .kernarg_segment_size: 104
    .language:       OpenCL C
    .language_version:
      - 2
      - 0
    .max_flat_workgroup_size: 63
    .name:           bluestein_single_fwd_len945_dim1_sp_op_CI_CI
    .private_segment_fixed_size: 0
    .sgpr_count:     24
    .sgpr_spill_count: 0
    .symbol:         bluestein_single_fwd_len945_dim1_sp_op_CI_CI.kd
    .uniform_work_group_size: 1
    .uses_dynamic_stack: false
    .vgpr_count:     229
    .vgpr_spill_count: 0
    .wavefront_size: 64
amdhsa.target:   amdgcn-amd-amdhsa--gfx906
amdhsa.version:
  - 1
  - 2
...

	.end_amdgpu_metadata
